;; amdgpu-corpus repo=ROCm/rocFFT kind=compiled arch=gfx1030 opt=O3
	.text
	.amdgcn_target "amdgcn-amd-amdhsa--gfx1030"
	.amdhsa_code_object_version 6
	.protected	fft_rtc_back_len1445_factors_17_5_17_wgs_85_tpt_85_halfLds_sp_op_CI_CI_unitstride_sbrr_dirReg ; -- Begin function fft_rtc_back_len1445_factors_17_5_17_wgs_85_tpt_85_halfLds_sp_op_CI_CI_unitstride_sbrr_dirReg
	.globl	fft_rtc_back_len1445_factors_17_5_17_wgs_85_tpt_85_halfLds_sp_op_CI_CI_unitstride_sbrr_dirReg
	.p2align	8
	.type	fft_rtc_back_len1445_factors_17_5_17_wgs_85_tpt_85_halfLds_sp_op_CI_CI_unitstride_sbrr_dirReg,@function
fft_rtc_back_len1445_factors_17_5_17_wgs_85_tpt_85_halfLds_sp_op_CI_CI_unitstride_sbrr_dirReg: ; @fft_rtc_back_len1445_factors_17_5_17_wgs_85_tpt_85_halfLds_sp_op_CI_CI_unitstride_sbrr_dirReg
; %bb.0:
	s_clause 0x2
	s_load_dwordx4 s[12:15], s[4:5], 0x0
	s_load_dwordx4 s[8:11], s[4:5], 0x58
	;; [unrolled: 1-line block ×3, first 2 shown]
	v_mul_u32_u24_e32 v1, 0x304, v0
	v_mov_b32_e32 v3, 0
	v_mov_b32_e32 v8, 0
	;; [unrolled: 1-line block ×3, first 2 shown]
	v_add_nc_u32_sdwa v10, s6, v1 dst_sel:DWORD dst_unused:UNUSED_PAD src0_sel:DWORD src1_sel:WORD_1
	v_mov_b32_e32 v11, v3
	s_waitcnt lgkmcnt(0)
	v_cmp_lt_u64_e64 s0, s[14:15], 2
	s_and_b32 vcc_lo, exec_lo, s0
	s_cbranch_vccnz .LBB0_8
; %bb.1:
	s_load_dwordx2 s[0:1], s[4:5], 0x10
	v_mov_b32_e32 v8, 0
	v_mov_b32_e32 v9, 0
	s_add_u32 s2, s18, 8
	s_addc_u32 s3, s19, 0
	v_mov_b32_e32 v1, v8
	s_add_u32 s6, s16, 8
	v_mov_b32_e32 v2, v9
	s_addc_u32 s7, s17, 0
	s_mov_b64 s[22:23], 1
	s_waitcnt lgkmcnt(0)
	s_add_u32 s20, s0, 8
	s_addc_u32 s21, s1, 0
.LBB0_2:                                ; =>This Inner Loop Header: Depth=1
	s_load_dwordx2 s[24:25], s[20:21], 0x0
                                        ; implicit-def: $vgpr5_vgpr6
	s_mov_b32 s0, exec_lo
	s_waitcnt lgkmcnt(0)
	v_or_b32_e32 v4, s25, v11
	v_cmpx_ne_u64_e32 0, v[3:4]
	s_xor_b32 s1, exec_lo, s0
	s_cbranch_execz .LBB0_4
; %bb.3:                                ;   in Loop: Header=BB0_2 Depth=1
	v_cvt_f32_u32_e32 v4, s24
	v_cvt_f32_u32_e32 v5, s25
	s_sub_u32 s0, 0, s24
	s_subb_u32 s26, 0, s25
	v_fmac_f32_e32 v4, 0x4f800000, v5
	v_rcp_f32_e32 v4, v4
	v_mul_f32_e32 v4, 0x5f7ffffc, v4
	v_mul_f32_e32 v5, 0x2f800000, v4
	v_trunc_f32_e32 v5, v5
	v_fmac_f32_e32 v4, 0xcf800000, v5
	v_cvt_u32_f32_e32 v5, v5
	v_cvt_u32_f32_e32 v4, v4
	v_mul_lo_u32 v6, s0, v5
	v_mul_hi_u32 v7, s0, v4
	v_mul_lo_u32 v12, s26, v4
	v_add_nc_u32_e32 v6, v7, v6
	v_mul_lo_u32 v7, s0, v4
	v_add_nc_u32_e32 v6, v6, v12
	v_mul_hi_u32 v12, v4, v7
	v_mul_lo_u32 v13, v4, v6
	v_mul_hi_u32 v14, v4, v6
	v_mul_hi_u32 v15, v5, v7
	v_mul_lo_u32 v7, v5, v7
	v_mul_hi_u32 v16, v5, v6
	v_mul_lo_u32 v6, v5, v6
	v_add_co_u32 v12, vcc_lo, v12, v13
	v_add_co_ci_u32_e32 v13, vcc_lo, 0, v14, vcc_lo
	v_add_co_u32 v7, vcc_lo, v12, v7
	v_add_co_ci_u32_e32 v7, vcc_lo, v13, v15, vcc_lo
	v_add_co_ci_u32_e32 v12, vcc_lo, 0, v16, vcc_lo
	v_add_co_u32 v6, vcc_lo, v7, v6
	v_add_co_ci_u32_e32 v7, vcc_lo, 0, v12, vcc_lo
	v_add_co_u32 v4, vcc_lo, v4, v6
	v_add_co_ci_u32_e32 v5, vcc_lo, v5, v7, vcc_lo
	v_mul_hi_u32 v6, s0, v4
	v_mul_lo_u32 v12, s26, v4
	v_mul_lo_u32 v7, s0, v5
	v_add_nc_u32_e32 v6, v6, v7
	v_mul_lo_u32 v7, s0, v4
	v_add_nc_u32_e32 v6, v6, v12
	v_mul_hi_u32 v12, v4, v7
	v_mul_lo_u32 v13, v4, v6
	v_mul_hi_u32 v14, v4, v6
	v_mul_hi_u32 v15, v5, v7
	v_mul_lo_u32 v7, v5, v7
	v_mul_hi_u32 v16, v5, v6
	v_mul_lo_u32 v6, v5, v6
	v_add_co_u32 v12, vcc_lo, v12, v13
	v_add_co_ci_u32_e32 v13, vcc_lo, 0, v14, vcc_lo
	v_add_co_u32 v7, vcc_lo, v12, v7
	v_add_co_ci_u32_e32 v7, vcc_lo, v13, v15, vcc_lo
	v_add_co_ci_u32_e32 v12, vcc_lo, 0, v16, vcc_lo
	v_add_co_u32 v6, vcc_lo, v7, v6
	v_add_co_ci_u32_e32 v7, vcc_lo, 0, v12, vcc_lo
	v_add_co_u32 v6, vcc_lo, v4, v6
	v_add_co_ci_u32_e32 v12, vcc_lo, v5, v7, vcc_lo
	v_mul_hi_u32 v14, v10, v6
	v_mad_u64_u32 v[6:7], null, v11, v6, 0
	v_mad_u64_u32 v[4:5], null, v10, v12, 0
	;; [unrolled: 1-line block ×3, first 2 shown]
	v_add_co_u32 v4, vcc_lo, v14, v4
	v_add_co_ci_u32_e32 v5, vcc_lo, 0, v5, vcc_lo
	v_add_co_u32 v4, vcc_lo, v4, v6
	v_add_co_ci_u32_e32 v4, vcc_lo, v5, v7, vcc_lo
	v_add_co_ci_u32_e32 v5, vcc_lo, 0, v13, vcc_lo
	v_add_co_u32 v7, vcc_lo, v4, v12
	v_add_co_ci_u32_e32 v6, vcc_lo, 0, v5, vcc_lo
	v_mul_lo_u32 v12, s25, v7
	v_mad_u64_u32 v[4:5], null, s24, v7, 0
	v_mul_lo_u32 v13, s24, v6
	v_sub_co_u32 v4, vcc_lo, v10, v4
	v_add3_u32 v5, v5, v13, v12
	v_sub_nc_u32_e32 v12, v11, v5
	v_subrev_co_ci_u32_e64 v12, s0, s25, v12, vcc_lo
	v_add_co_u32 v13, s0, v7, 2
	v_add_co_ci_u32_e64 v14, s0, 0, v6, s0
	v_sub_co_u32 v15, s0, v4, s24
	v_sub_co_ci_u32_e32 v5, vcc_lo, v11, v5, vcc_lo
	v_subrev_co_ci_u32_e64 v12, s0, 0, v12, s0
	v_cmp_le_u32_e32 vcc_lo, s24, v15
	v_cmp_eq_u32_e64 s0, s25, v5
	v_cndmask_b32_e64 v15, 0, -1, vcc_lo
	v_cmp_le_u32_e32 vcc_lo, s25, v12
	v_cndmask_b32_e64 v16, 0, -1, vcc_lo
	v_cmp_le_u32_e32 vcc_lo, s24, v4
	;; [unrolled: 2-line block ×3, first 2 shown]
	v_cndmask_b32_e64 v17, 0, -1, vcc_lo
	v_cmp_eq_u32_e32 vcc_lo, s25, v12
	v_cndmask_b32_e64 v4, v17, v4, s0
	v_cndmask_b32_e32 v12, v16, v15, vcc_lo
	v_add_co_u32 v15, vcc_lo, v7, 1
	v_add_co_ci_u32_e32 v16, vcc_lo, 0, v6, vcc_lo
	v_cmp_ne_u32_e32 vcc_lo, 0, v12
	v_cndmask_b32_e32 v5, v16, v14, vcc_lo
	v_cndmask_b32_e32 v12, v15, v13, vcc_lo
	v_cmp_ne_u32_e32 vcc_lo, 0, v4
	v_cndmask_b32_e32 v6, v6, v5, vcc_lo
	v_cndmask_b32_e32 v5, v7, v12, vcc_lo
.LBB0_4:                                ;   in Loop: Header=BB0_2 Depth=1
	s_andn2_saveexec_b32 s0, s1
	s_cbranch_execz .LBB0_6
; %bb.5:                                ;   in Loop: Header=BB0_2 Depth=1
	v_cvt_f32_u32_e32 v4, s24
	s_sub_i32 s1, 0, s24
	v_rcp_iflag_f32_e32 v4, v4
	v_mul_f32_e32 v4, 0x4f7ffffe, v4
	v_cvt_u32_f32_e32 v4, v4
	v_mul_lo_u32 v5, s1, v4
	v_mul_hi_u32 v5, v4, v5
	v_add_nc_u32_e32 v4, v4, v5
	v_mul_hi_u32 v4, v10, v4
	v_mul_lo_u32 v5, v4, s24
	v_add_nc_u32_e32 v6, 1, v4
	v_sub_nc_u32_e32 v5, v10, v5
	v_subrev_nc_u32_e32 v7, s24, v5
	v_cmp_le_u32_e32 vcc_lo, s24, v5
	v_cndmask_b32_e32 v5, v5, v7, vcc_lo
	v_cndmask_b32_e32 v4, v4, v6, vcc_lo
	v_cmp_le_u32_e32 vcc_lo, s24, v5
	v_add_nc_u32_e32 v6, 1, v4
	v_cndmask_b32_e32 v5, v4, v6, vcc_lo
	v_mov_b32_e32 v6, v3
.LBB0_6:                                ;   in Loop: Header=BB0_2 Depth=1
	s_or_b32 exec_lo, exec_lo, s0
	v_mul_lo_u32 v4, v6, s24
	v_mul_lo_u32 v7, v5, s25
	s_load_dwordx2 s[0:1], s[6:7], 0x0
	v_mad_u64_u32 v[12:13], null, v5, s24, 0
	s_load_dwordx2 s[24:25], s[2:3], 0x0
	s_add_u32 s22, s22, 1
	s_addc_u32 s23, s23, 0
	s_add_u32 s2, s2, 8
	s_addc_u32 s3, s3, 0
	s_add_u32 s6, s6, 8
	v_add3_u32 v4, v13, v7, v4
	v_sub_co_u32 v7, vcc_lo, v10, v12
	s_addc_u32 s7, s7, 0
	s_add_u32 s20, s20, 8
	v_sub_co_ci_u32_e32 v4, vcc_lo, v11, v4, vcc_lo
	s_addc_u32 s21, s21, 0
	s_waitcnt lgkmcnt(0)
	v_mul_lo_u32 v10, s0, v4
	v_mul_lo_u32 v11, s1, v7
	v_mad_u64_u32 v[8:9], null, s0, v7, v[8:9]
	v_mul_lo_u32 v4, s24, v4
	v_mul_lo_u32 v12, s25, v7
	v_mad_u64_u32 v[1:2], null, s24, v7, v[1:2]
	v_cmp_ge_u64_e64 s0, s[22:23], s[14:15]
	v_add3_u32 v9, v11, v9, v10
	v_add3_u32 v2, v12, v2, v4
	s_and_b32 vcc_lo, exec_lo, s0
	s_cbranch_vccnz .LBB0_9
; %bb.7:                                ;   in Loop: Header=BB0_2 Depth=1
	v_mov_b32_e32 v11, v6
	v_mov_b32_e32 v10, v5
	s_branch .LBB0_2
.LBB0_8:
	v_mov_b32_e32 v1, v8
	v_mov_b32_e32 v5, v10
	;; [unrolled: 1-line block ×4, first 2 shown]
.LBB0_9:
	s_load_dwordx2 s[0:1], s[4:5], 0x28
	v_mul_hi_u32 v11, 0x3030304, v0
	s_lshl_b64 s[4:5], s[14:15], 3
                                        ; implicit-def: $sgpr6_sgpr7
                                        ; implicit-def: $vgpr7
	s_add_u32 s2, s18, s4
	s_addc_u32 s3, s19, s5
	s_waitcnt lgkmcnt(0)
	v_cmp_gt_u64_e32 vcc_lo, s[0:1], v[5:6]
	v_cmp_le_u64_e64 s0, s[0:1], v[5:6]
	s_and_saveexec_b32 s1, s0
	s_xor_b32 s0, exec_lo, s1
; %bb.10:
	v_mul_u32_u24_e32 v3, 0x55, v11
	s_mov_b64 s[6:7], 0
                                        ; implicit-def: $vgpr11
                                        ; implicit-def: $vgpr8_vgpr9
	v_sub_nc_u32_e32 v7, v0, v3
                                        ; implicit-def: $vgpr0
; %bb.11:
	s_or_saveexec_b32 s1, s0
	v_mov_b32_e32 v3, s6
	v_mov_b32_e32 v46, s7
	;; [unrolled: 1-line block ×4, first 2 shown]
                                        ; implicit-def: $vgpr56
                                        ; implicit-def: $vgpr54
                                        ; implicit-def: $vgpr44
                                        ; implicit-def: $vgpr40
                                        ; implicit-def: $vgpr26
                                        ; implicit-def: $vgpr18
                                        ; implicit-def: $vgpr14
                                        ; implicit-def: $vgpr10
                                        ; implicit-def: $vgpr50
                                        ; implicit-def: $vgpr52
                                        ; implicit-def: $vgpr48
                                        ; implicit-def: $vgpr42
                                        ; implicit-def: $vgpr28
                                        ; implicit-def: $vgpr24
                                        ; implicit-def: $vgpr16
                                        ; implicit-def: $vgpr12
	s_xor_b32 exec_lo, exec_lo, s1
	s_cbranch_execz .LBB0_13
; %bb.12:
	s_add_u32 s4, s16, s4
	s_addc_u32 s5, s17, s5
	v_lshlrev_b64 v[8:9], 3, v[8:9]
	s_load_dwordx2 s[4:5], s[4:5], 0x0
	s_waitcnt lgkmcnt(0)
	v_mul_lo_u32 v7, s5, v5
	v_mul_lo_u32 v10, s4, v6
	v_mad_u64_u32 v[3:4], null, s4, v5, 0
	v_add3_u32 v4, v4, v10, v7
	v_mul_u32_u24_e32 v7, 0x55, v11
	v_lshlrev_b64 v[3:4], 3, v[3:4]
	v_sub_nc_u32_e32 v7, v0, v7
	v_add_co_u32 v0, s0, s8, v3
	v_add_co_ci_u32_e64 v3, s0, s9, v4, s0
	v_lshlrev_b32_e32 v4, 3, v7
	v_add_co_u32 v0, s0, v0, v8
	v_add_co_ci_u32_e64 v8, s0, v3, v9, s0
	v_add_co_u32 v3, s0, v0, v4
	v_add_co_ci_u32_e64 v4, s0, 0, v8, s0
	s_clause 0x3
	global_load_dwordx2 v[45:46], v[3:4], off
	global_load_dwordx2 v[55:56], v[3:4], off offset:680
	global_load_dwordx2 v[53:54], v[3:4], off offset:1360
	;; [unrolled: 1-line block ×3, first 2 shown]
	v_add_co_u32 v8, s0, 0x800, v3
	v_add_co_ci_u32_e64 v9, s0, 0, v4, s0
	v_add_co_u32 v11, s0, 0x1000, v3
	v_add_co_ci_u32_e64 v12, s0, 0, v4, s0
	;; [unrolled: 2-line block ×5, first 2 shown]
	s_clause 0xc
	global_load_dwordx2 v[39:40], v[8:9], off offset:672
	global_load_dwordx2 v[25:26], v[8:9], off offset:1352
	;; [unrolled: 1-line block ×13, first 2 shown]
	v_mov_b32_e32 v8, 0
	v_mov_b32_e32 v3, v7
	;; [unrolled: 1-line block ×3, first 2 shown]
.LBB0_13:
	s_or_b32 exec_lo, exec_lo, s1
	s_waitcnt vmcnt(0)
	v_sub_f32_e32 v8, v56, v50
	v_add_f32_e32 v19, v55, v49
	v_sub_f32_e32 v21, v54, v52
	v_add_f32_e32 v20, v53, v51
	v_add_f32_e32 v0, v55, v45
	v_mul_f32_e32 v22, 0xbeb8f4ab, v8
	v_mul_f32_e32 v29, 0xbf2c7751, v8
	;; [unrolled: 1-line block ×9, first 2 shown]
	v_fmamk_f32 v36, v19, 0x3f6eb680, v22
	v_fma_f32 v22, 0x3f6eb680, v19, -v22
	v_fmamk_f32 v37, v19, 0x3f3d2fb0, v29
	v_fma_f32 v29, 0x3f3d2fb0, v19, -v29
	;; [unrolled: 2-line block ×7, first 2 shown]
	v_fmamk_f32 v61, v19, 0xbf7ba420, v8
	v_fmamk_f32 v62, v20, 0x3f3d2fb0, v35
	v_add_f32_e32 v36, v36, v45
	v_add_f32_e32 v22, v22, v45
	v_mul_f32_e32 v63, 0xbf7ee86f, v21
	v_fma_f32 v8, 0xbf7ba420, v19, -v8
	v_fma_f32 v19, 0x3f3d2fb0, v20, -v35
	v_add_f32_e32 v37, v37, v45
	v_add_f32_e32 v35, v62, v36
	v_mul_f32_e32 v36, 0xbf4c4adb, v21
	v_fmamk_f32 v62, v20, 0x3dbcf732, v63
	v_add_f32_e32 v19, v19, v22
	v_mul_f32_e32 v22, 0xbe3c28d5, v21
	v_add_f32_e32 v29, v29, v45
	v_add_f32_e32 v30, v30, v45
	;; [unrolled: 1-line block ×3, first 2 shown]
	v_fma_f32 v63, 0x3dbcf732, v20, -v63
	v_fmamk_f32 v64, v20, 0xbf1a4643, v36
	v_add_f32_e32 v37, v62, v37
	v_fma_f32 v36, 0xbf1a4643, v20, -v36
	v_fmamk_f32 v62, v20, 0xbf7ba420, v22
	v_add_f32_e32 v38, v38, v45
	v_add_f32_e32 v31, v31, v45
	;; [unrolled: 1-line block ×3, first 2 shown]
	v_fma_f32 v22, 0xbf7ba420, v20, -v22
	v_mul_f32_e32 v63, 0x3f06c442, v21
	v_add_f32_e32 v30, v36, v30
	v_add_f32_e32 v36, v62, v57
	v_mul_f32_e32 v57, 0x3f763a35, v21
	v_add_f32_e32 v58, v58, v45
	v_add_f32_e32 v33, v33, v45
	;; [unrolled: 1-line block ×4, first 2 shown]
	v_fmamk_f32 v31, v20, 0xbf59a7d5, v63
	v_fma_f32 v62, 0xbf59a7d5, v20, -v63
	v_mul_f32_e32 v63, 0x3f65296c, v21
	v_fmamk_f32 v64, v20, 0xbe8c1d8e, v57
	v_fma_f32 v57, 0xbe8c1d8e, v20, -v57
	v_add_f32_e32 v32, v32, v45
	v_add_f32_e32 v59, v59, v45
	;; [unrolled: 1-line block ×4, first 2 shown]
	v_fmamk_f32 v58, v20, 0x3ee437d1, v63
	v_add_f32_e32 v33, v57, v33
	v_sub_f32_e32 v57, v44, v48
	v_mul_f32_e32 v21, 0x3eb8f4ab, v21
	v_add_f32_e32 v34, v34, v45
	v_add_f32_e32 v32, v62, v32
	;; [unrolled: 1-line block ×4, first 2 shown]
	v_fma_f32 v60, 0x3ee437d1, v20, -v63
	v_add_f32_e32 v62, v43, v47
	v_mul_f32_e32 v63, 0xbf65296c, v57
	v_fmamk_f32 v64, v20, 0x3f6eb680, v21
	v_add_f32_e32 v8, v8, v45
	v_fma_f32 v20, 0x3f6eb680, v20, -v21
	v_add_f32_e32 v61, v61, v45
	v_add_f32_e32 v21, v60, v34
	v_fmamk_f32 v34, v62, 0x3ee437d1, v63
	v_mul_f32_e32 v60, 0xbf4c4adb, v57
	v_add_f32_e32 v8, v20, v8
	v_fma_f32 v20, 0x3ee437d1, v62, -v63
	v_add_f32_e32 v45, v64, v61
	v_add_f32_e32 v34, v34, v35
	v_mul_f32_e32 v35, 0x3e3c28d5, v57
	v_fmamk_f32 v61, v62, 0xbf1a4643, v60
	v_fma_f32 v60, 0xbf1a4643, v62, -v60
	v_add_f32_e32 v19, v20, v19
	v_mul_f32_e32 v20, 0x3f763a35, v57
	v_fmamk_f32 v63, v62, 0xbf7ba420, v35
	v_fma_f32 v35, 0xbf7ba420, v62, -v35
	v_add_f32_e32 v29, v60, v29
	v_add_f32_e32 v37, v61, v37
	v_fmamk_f32 v60, v62, 0xbe8c1d8e, v20
	v_fma_f32 v20, 0xbe8c1d8e, v62, -v20
	v_mul_f32_e32 v61, 0x3f2c7751, v57
	v_add_f32_e32 v30, v35, v30
	v_add_f32_e32 v38, v63, v38
	v_add_f32_e32 v35, v60, v36
	v_mul_f32_e32 v36, 0xbeb8f4ab, v57
	v_add_f32_e32 v20, v20, v22
	v_fmamk_f32 v22, v62, 0x3f3d2fb0, v61
	v_fma_f32 v60, 0x3f3d2fb0, v62, -v61
	v_mul_f32_e32 v61, 0xbf7ee86f, v57
	v_fmamk_f32 v63, v62, 0x3f6eb680, v36
	v_fma_f32 v36, 0x3f6eb680, v62, -v36
	v_add_f32_e32 v22, v22, v31
	v_add_f32_e32 v31, v60, v32
	v_fmamk_f32 v32, v62, 0x3dbcf732, v61
	v_mul_f32_e32 v57, 0xbf06c442, v57
	v_add_f32_e32 v33, v36, v33
	v_sub_f32_e32 v36, v40, v42
	v_add_f32_e32 v60, v39, v41
	v_add_f32_e32 v32, v32, v58
	v_fma_f32 v58, 0x3dbcf732, v62, -v61
	v_add_f32_e32 v59, v63, v59
	v_mul_f32_e32 v61, 0xbf7ee86f, v36
	v_fmamk_f32 v63, v62, 0xbf59a7d5, v57
	v_fma_f32 v57, 0xbf59a7d5, v62, -v57
	v_add_f32_e32 v21, v58, v21
	v_mul_f32_e32 v62, 0xbe3c28d5, v36
	v_fmamk_f32 v58, v60, 0x3dbcf732, v61
	v_add_f32_e32 v45, v63, v45
	v_add_f32_e32 v8, v57, v8
	v_fma_f32 v57, 0x3dbcf732, v60, -v61
	v_fmamk_f32 v61, v60, 0xbf7ba420, v62
	v_add_f32_e32 v34, v58, v34
	v_mul_f32_e32 v58, 0x3f763a35, v36
	v_fma_f32 v62, 0xbf7ba420, v60, -v62
	v_add_f32_e32 v19, v57, v19
	v_mul_f32_e32 v57, 0x3eb8f4ab, v36
	v_add_f32_e32 v37, v61, v37
	v_fmamk_f32 v63, v60, 0xbe8c1d8e, v58
	v_fma_f32 v58, 0xbe8c1d8e, v60, -v58
	v_add_f32_e32 v29, v62, v29
	v_fmamk_f32 v61, v60, 0x3f6eb680, v57
	v_fma_f32 v57, 0x3f6eb680, v60, -v57
	v_mul_f32_e32 v62, 0xbf65296c, v36
	v_add_f32_e32 v30, v58, v30
	v_mul_f32_e32 v58, 0xbf06c442, v36
	v_add_f32_e32 v38, v63, v38
	v_add_f32_e32 v35, v61, v35
	v_add_f32_e32 v20, v57, v20
	v_fmamk_f32 v57, v60, 0x3ee437d1, v62
	v_fma_f32 v61, 0x3ee437d1, v60, -v62
	v_mul_f32_e32 v62, 0x3f4c4adb, v36
	v_fmamk_f32 v63, v60, 0xbf59a7d5, v58
	v_fma_f32 v58, 0xbf59a7d5, v60, -v58
	v_add_f32_e32 v22, v57, v22
	v_add_f32_e32 v31, v61, v31
	v_fmamk_f32 v57, v60, 0xbf1a4643, v62
	v_mul_f32_e32 v36, 0x3f2c7751, v36
	v_add_f32_e32 v33, v58, v33
	v_sub_f32_e32 v58, v26, v28
	v_add_f32_e32 v61, v25, v27
	v_add_f32_e32 v32, v57, v32
	v_fma_f32 v57, 0xbf1a4643, v60, -v62
	v_add_f32_e32 v59, v63, v59
	v_mul_f32_e32 v62, 0xbf763a35, v58
	v_fmamk_f32 v63, v60, 0x3f3d2fb0, v36
	v_fma_f32 v36, 0x3f3d2fb0, v60, -v36
	v_add_f32_e32 v21, v57, v21
	v_mul_f32_e32 v60, 0x3f06c442, v58
	v_fmamk_f32 v57, v61, 0xbe8c1d8e, v62
	v_add_f32_e32 v45, v63, v45
	v_add_f32_e32 v8, v36, v8
	v_fma_f32 v36, 0xbe8c1d8e, v61, -v62
	v_fmamk_f32 v62, v61, 0xbf59a7d5, v60
	v_add_f32_e32 v34, v57, v34
	v_mul_f32_e32 v57, 0x3f2c7751, v58
	v_fma_f32 v60, 0xbf59a7d5, v61, -v60
	v_add_f32_e32 v19, v36, v19
	v_mul_f32_e32 v36, 0xbf65296c, v58
	v_add_f32_e32 v37, v62, v37
	v_fmamk_f32 v63, v61, 0x3f3d2fb0, v57
	v_fma_f32 v57, 0x3f3d2fb0, v61, -v57
	v_add_f32_e32 v29, v60, v29
	v_fmamk_f32 v60, v61, 0x3ee437d1, v36
	v_fma_f32 v36, 0x3ee437d1, v61, -v36
	v_mul_f32_e32 v62, 0xbe3c28d5, v58
	v_add_f32_e32 v30, v57, v30
	v_mul_f32_e32 v57, 0x3f7ee86f, v58
	v_add_f32_e32 v38, v63, v38
	v_add_f32_e32 v35, v60, v35
	;; [unrolled: 42-line block ×3, first 2 shown]
	v_add_f32_e32 v20, v58, v20
	v_fmamk_f32 v58, v60, 0x3dbcf732, v62
	v_fma_f32 v61, 0x3dbcf732, v60, -v62
	v_mul_f32_e32 v62, 0xbe3c28d5, v57
	v_fmamk_f32 v63, v60, 0x3f3d2fb0, v36
	v_fma_f32 v36, 0x3f3d2fb0, v60, -v36
	v_add_f32_e32 v0, v53, v0
	v_add_f32_e32 v22, v58, v22
	v_fmamk_f32 v58, v60, 0xbf7ba420, v62
	v_mul_f32_e32 v57, 0x3f65296c, v57
	v_add_f32_e32 v33, v36, v33
	v_sub_f32_e32 v36, v14, v16
	v_add_f32_e32 v0, v43, v0
	v_add_f32_e32 v31, v61, v31
	;; [unrolled: 1-line block ×4, first 2 shown]
	v_fma_f32 v58, 0xbf7ba420, v60, -v62
	v_add_f32_e32 v61, v13, v15
	v_mul_f32_e32 v62, 0xbf06c442, v36
	v_fmamk_f32 v63, v60, 0x3ee437d1, v57
	v_fma_f32 v57, 0x3ee437d1, v60, -v57
	v_add_f32_e32 v0, v39, v0
	v_add_f32_e32 v21, v58, v21
	v_fmamk_f32 v58, v61, 0xbf59a7d5, v62
	v_mul_f32_e32 v60, 0x3f65296c, v36
	v_add_f32_e32 v8, v57, v8
	v_fma_f32 v57, 0xbf59a7d5, v61, -v62
	v_add_f32_e32 v0, v25, v0
	v_add_f32_e32 v34, v58, v34
	v_mul_f32_e32 v58, 0xbf7ee86f, v36
	v_fmamk_f32 v62, v61, 0x3ee437d1, v60
	v_fma_f32 v60, 0x3ee437d1, v61, -v60
	v_add_f32_e32 v19, v57, v19
	v_mul_f32_e32 v57, 0x3f4c4adb, v36
	v_add_f32_e32 v0, v17, v0
	v_add_f32_e32 v45, v63, v45
	v_fmamk_f32 v63, v61, 0x3dbcf732, v58
	v_add_f32_e32 v37, v62, v37
	v_add_f32_e32 v29, v60, v29
	v_fma_f32 v58, 0x3dbcf732, v61, -v58
	v_fmamk_f32 v60, v61, 0xbf1a4643, v57
	v_mul_f32_e32 v62, 0xbeb8f4ab, v36
	v_fma_f32 v57, 0xbf1a4643, v61, -v57
	v_add_f32_e32 v0, v13, v0
	v_add_f32_e32 v30, v58, v30
	;; [unrolled: 1-line block ×3, first 2 shown]
	v_mul_f32_e32 v58, 0xbe3c28d5, v36
	v_fmamk_f32 v60, v61, 0x3f6eb680, v62
	v_add_f32_e32 v20, v57, v20
	v_fma_f32 v57, 0x3f6eb680, v61, -v62
	v_mul_f32_e32 v62, 0x3f2c7751, v36
	v_add_f32_e32 v0, v9, v0
	v_add_f32_e32 v38, v63, v38
	v_fmamk_f32 v63, v61, 0xbf7ba420, v58
	v_fma_f32 v58, 0xbf7ba420, v61, -v58
	v_add_f32_e32 v31, v57, v31
	v_fmamk_f32 v57, v61, 0x3f3d2fb0, v62
	v_add_f32_e32 v0, v11, v0
	v_mul_f32_e32 v36, 0xbf763a35, v36
	v_add_f32_e32 v33, v58, v33
	v_sub_f32_e32 v58, v10, v12
	v_add_f32_e32 v32, v57, v32
	v_fma_f32 v57, 0x3f3d2fb0, v61, -v62
	v_add_f32_e32 v0, v15, v0
	v_add_f32_e32 v22, v60, v22
	v_add_f32_e32 v59, v63, v59
	v_fmamk_f32 v60, v61, 0xbe8c1d8e, v36
	v_add_f32_e32 v62, v9, v11
	v_mul_f32_e32 v63, 0xbe3c28d5, v58
	v_fma_f32 v36, 0xbe8c1d8e, v61, -v36
	v_add_f32_e32 v21, v57, v21
	v_mul_f32_e32 v57, 0x3eb8f4ab, v58
	v_add_f32_e32 v0, v23, v0
	v_add_f32_e32 v60, v60, v45
	v_fmamk_f32 v45, v62, 0xbf7ba420, v63
	v_add_f32_e32 v36, v36, v8
	v_fma_f32 v8, 0xbf7ba420, v62, -v63
	v_fmamk_f32 v61, v62, 0x3f6eb680, v57
	v_mul_f32_e32 v63, 0xbf06c442, v58
	v_add_f32_e32 v0, v27, v0
	v_add_f32_e32 v34, v45, v34
	v_fma_f32 v45, 0x3f6eb680, v62, -v57
	v_add_f32_e32 v57, v8, v19
	v_add_f32_e32 v19, v61, v37
	v_fmamk_f32 v8, v62, 0xbf59a7d5, v63
	v_mul_f32_e32 v37, 0x3f2c7751, v58
	v_add_f32_e32 v0, v41, v0
	v_add_f32_e32 v45, v45, v29
	v_fma_f32 v29, 0xbf59a7d5, v62, -v63
	v_mul_f32_e32 v61, 0xbf4c4adb, v58
	v_add_f32_e32 v38, v8, v38
	v_fmamk_f32 v8, v62, 0x3f3d2fb0, v37
	v_add_f32_e32 v0, v47, v0
	v_fma_f32 v37, 0x3f3d2fb0, v62, -v37
	v_add_f32_e32 v29, v29, v30
	v_fmamk_f32 v30, v62, 0xbf1a4643, v61
	v_mul_f32_e32 v63, 0x3f65296c, v58
	v_add_f32_e32 v35, v8, v35
	v_fma_f32 v8, 0xbf1a4643, v62, -v61
	v_add_f32_e32 v0, v51, v0
	v_add_f32_e32 v20, v37, v20
	;; [unrolled: 1-line block ×3, first 2 shown]
	v_fmamk_f32 v30, v62, 0x3ee437d1, v63
	v_fma_f32 v37, 0x3ee437d1, v62, -v63
	v_mul_f32_e32 v61, 0xbf763a35, v58
	v_add_f32_e32 v31, v8, v31
	v_mul_f32_e32 v8, 0x3f7ee86f, v58
	v_add_f32_e32 v0, v49, v0
	v_add_f32_e32 v30, v30, v59
	;; [unrolled: 1-line block ×3, first 2 shown]
	v_fmamk_f32 v37, v62, 0xbe8c1d8e, v61
	v_fma_f32 v58, 0xbe8c1d8e, v62, -v61
	v_fmamk_f32 v59, v62, 0x3dbcf732, v8
	v_fma_f32 v61, 0x3dbcf732, v62, -v8
	v_mad_u32_u24 v8, 0x44, v7, 0
	s_load_dwordx2 s[2:3], s[2:3], 0x0
	ds_write2_b32 v8, v0, v34 offset1:1
	ds_write2_b32 v8, v19, v38 offset0:2 offset1:3
	ds_write2_b32 v8, v35, v22 offset0:4 offset1:5
	v_lshlrev_b32_e32 v0, 6, v7
	v_add_f32_e32 v32, v37, v32
	v_add_f32_e32 v37, v59, v60
	;; [unrolled: 1-line block ×4, first 2 shown]
	v_sub_nc_u32_e32 v0, v8, v0
	ds_write2_b32 v8, v30, v32 offset0:6 offset1:7
	ds_write2_b32 v8, v37, v36 offset0:8 offset1:9
	;; [unrolled: 1-line block ×5, first 2 shown]
	ds_write_b32 v8, v57 offset:64
	s_waitcnt lgkmcnt(0)
	v_add_nc_u32_e32 v63, 0x800, v0
	v_add_nc_u32_e32 v64, 0xa00, v0
	;; [unrolled: 1-line block ×6, first 2 shown]
	s_barrier
	buffer_gl0_inv
	ds_read2_b32 v[21:22], v0 offset1:85
	ds_read2_b32 v[19:20], v62 offset0:42 offset1:161
	ds_read2_b32 v[31:32], v63 offset0:66 offset1:151
	;; [unrolled: 1-line block ×4, first 2 shown]
	ds_read_b32 v58, v0 offset:5304
	ds_read2_b32 v[37:38], v66 offset0:118 offset1:203
	ds_read2_b32 v[35:36], v67 offset0:56 offset1:141
	v_cmp_gt_u32_e64 s0, 34, v7
                                        ; implicit-def: $vgpr59
                                        ; implicit-def: $vgpr60
                                        ; implicit-def: $vgpr61
	s_and_saveexec_b32 s1, s0
	s_cbranch_execz .LBB0_15
; %bb.14:
	ds_read_b32 v45, v0 offset:1020
	ds_read_b32 v57, v0 offset:2176
	;; [unrolled: 1-line block ×5, first 2 shown]
.LBB0_15:
	s_or_b32 exec_lo, exec_lo, s1
	v_add_f32_e32 v68, v56, v46
	v_sub_f32_e32 v51, v53, v51
	v_sub_f32_e32 v49, v55, v49
	v_add_f32_e32 v55, v56, v50
	v_add_f32_e32 v56, v54, v52
	;; [unrolled: 1-line block ×3, first 2 shown]
	v_mul_f32_e32 v74, 0xbf2c7751, v51
	v_mul_f32_e32 v54, 0xbeb8f4ab, v49
	;; [unrolled: 1-line block ×4, first 2 shown]
	v_add_f32_e32 v53, v44, v53
	v_mul_f32_e32 v70, 0xbf7ee86f, v49
	v_mul_f32_e32 v71, 0xbf763a35, v49
	;; [unrolled: 1-line block ×4, first 2 shown]
	v_add_f32_e32 v53, v40, v53
	v_mul_f32_e32 v49, 0xbe3c28d5, v49
	v_fma_f32 v79, 0x3f6eb680, v55, -v54
	v_fmac_f32_e32 v54, 0x3f6eb680, v55
	v_fma_f32 v80, 0x3f3d2fb0, v55, -v68
	v_add_f32_e32 v53, v26, v53
	v_fmac_f32_e32 v68, 0x3f3d2fb0, v55
	v_fma_f32 v81, 0x3ee437d1, v55, -v69
	v_fmac_f32_e32 v69, 0x3ee437d1, v55
	v_fma_f32 v82, 0x3dbcf732, v55, -v70
	v_add_f32_e32 v53, v18, v53
	v_fmac_f32_e32 v70, 0x3dbcf732, v55
	;; [unrolled: 5-line block ×4, first 2 shown]
	v_mul_f32_e32 v76, 0xbf4c4adb, v51
	v_mul_f32_e32 v77, 0xbe3c28d5, v51
	v_fma_f32 v55, 0x3f3d2fb0, v56, -v74
	v_add_f32_e32 v53, v12, v53
	v_fmac_f32_e32 v74, 0x3f3d2fb0, v56
	v_add_f32_e32 v79, v79, v46
	v_add_f32_e32 v54, v54, v46
	;; [unrolled: 1-line block ×20, first 2 shown]
	v_fma_f32 v88, 0xbf1a4643, v56, -v76
	v_fmac_f32_e32 v76, 0xbf1a4643, v56
	v_mul_f32_e32 v75, 0xbf7ee86f, v51
	v_add_f32_e32 v53, v48, v53
	v_mul_f32_e32 v78, 0x3f06c442, v51
	v_sub_f32_e32 v43, v43, v47
	v_add_f32_e32 v69, v76, v69
	v_fma_f32 v87, 0x3dbcf732, v56, -v75
	v_add_f32_e32 v46, v52, v53
	v_add_f32_e32 v52, v74, v54
	v_mul_f32_e32 v74, 0x3f763a35, v51
	v_fmac_f32_e32 v75, 0x3dbcf732, v56
	v_add_f32_e32 v44, v44, v48
	v_add_f32_e32 v46, v50, v46
	v_fma_f32 v50, 0xbf7ba420, v56, -v77
	v_fmac_f32_e32 v77, 0xbf7ba420, v56
	v_fma_f32 v76, 0xbe8c1d8e, v56, -v74
	v_fmac_f32_e32 v74, 0xbe8c1d8e, v56
	v_mul_f32_e32 v48, 0xbf65296c, v43
	v_add_f32_e32 v55, v55, v79
	v_add_f32_e32 v70, v77, v70
	v_mul_f32_e32 v77, 0x3f65296c, v51
	v_mul_f32_e32 v51, 0x3eb8f4ab, v51
	v_add_f32_e32 v72, v74, v72
	v_add_f32_e32 v54, v75, v68
	v_fma_f32 v75, 0xbf59a7d5, v56, -v78
	v_fma_f32 v47, 0x3ee437d1, v56, -v77
	v_fmac_f32_e32 v77, 0x3ee437d1, v56
	v_fma_f32 v74, 0x3f6eb680, v56, -v51
	v_fmac_f32_e32 v51, 0x3f6eb680, v56
	v_fmac_f32_e32 v78, 0xbf59a7d5, v56
	v_add_f32_e32 v53, v87, v80
	v_add_f32_e32 v56, v77, v73
	;; [unrolled: 1-line block ×3, first 2 shown]
	v_fma_f32 v74, 0x3ee437d1, v44, -v48
	v_mul_f32_e32 v77, 0xbf4c4adb, v43
	v_add_f32_e32 v49, v51, v49
	v_fmac_f32_e32 v48, 0x3ee437d1, v44
	v_mul_f32_e32 v51, 0x3e3c28d5, v43
	v_add_f32_e32 v68, v88, v81
	v_add_f32_e32 v71, v78, v71
	v_add_f32_e32 v55, v74, v55
	v_fma_f32 v74, 0xbf1a4643, v44, -v77
	v_add_f32_e32 v48, v48, v52
	v_fma_f32 v52, 0xbf7ba420, v44, -v51
	v_mul_f32_e32 v78, 0x3f763a35, v43
	v_add_f32_e32 v50, v50, v82
	v_add_f32_e32 v53, v74, v53
	v_mul_f32_e32 v74, 0x3f2c7751, v43
	v_add_f32_e32 v52, v52, v68
	v_fma_f32 v68, 0xbe8c1d8e, v44, -v78
	v_fmac_f32_e32 v78, 0xbe8c1d8e, v44
	v_add_f32_e32 v75, v75, v83
	v_fmac_f32_e32 v51, 0xbf7ba420, v44
	v_add_f32_e32 v47, v47, v85
	v_add_f32_e32 v50, v68, v50
	v_fma_f32 v68, 0x3f3d2fb0, v44, -v74
	v_add_f32_e32 v70, v78, v70
	v_mul_f32_e32 v78, 0xbf7ee86f, v43
	v_fmac_f32_e32 v77, 0xbf1a4643, v44
	v_add_f32_e32 v51, v51, v69
	v_mul_f32_e32 v69, 0xbeb8f4ab, v43
	v_add_f32_e32 v68, v68, v75
	v_fma_f32 v75, 0x3dbcf732, v44, -v78
	v_mul_f32_e32 v43, 0xbf06c442, v43
	v_sub_f32_e32 v39, v39, v41
	v_add_f32_e32 v54, v77, v54
	v_fma_f32 v77, 0x3f6eb680, v44, -v69
	v_fmac_f32_e32 v69, 0x3f6eb680, v44
	v_add_f32_e32 v41, v75, v47
	v_fma_f32 v47, 0xbf59a7d5, v44, -v43
	v_add_f32_e32 v40, v40, v42
	v_mul_f32_e32 v42, 0xbf7ee86f, v39
	v_fmac_f32_e32 v43, 0xbf59a7d5, v44
	v_add_f32_e32 v69, v69, v72
	v_fmac_f32_e32 v74, 0x3f3d2fb0, v44
	v_fmac_f32_e32 v78, 0x3dbcf732, v44
	v_fma_f32 v72, 0x3dbcf732, v40, -v42
	v_fmac_f32_e32 v42, 0x3dbcf732, v40
	v_add_f32_e32 v43, v43, v49
	v_mul_f32_e32 v49, 0x3f763a35, v39
	v_add_f32_e32 v44, v47, v73
	v_mul_f32_e32 v47, 0xbe3c28d5, v39
	v_add_f32_e32 v42, v42, v48
	v_add_f32_e32 v55, v72, v55
	v_fma_f32 v48, 0xbe8c1d8e, v40, -v49
	v_mul_f32_e32 v72, 0x3eb8f4ab, v39
	v_fma_f32 v73, 0xbf7ba420, v40, -v47
	v_fmac_f32_e32 v47, 0xbf7ba420, v40
	v_fmac_f32_e32 v49, 0xbe8c1d8e, v40
	v_add_f32_e32 v48, v48, v52
	v_mul_f32_e32 v52, 0xbf65296c, v39
	v_add_f32_e32 v71, v74, v71
	v_add_f32_e32 v53, v73, v53
	;; [unrolled: 1-line block ×3, first 2 shown]
	v_fma_f32 v54, 0x3f6eb680, v40, -v72
	v_add_f32_e32 v49, v49, v51
	v_fmac_f32_e32 v72, 0x3f6eb680, v40
	v_mul_f32_e32 v51, 0xbf06c442, v39
	v_fma_f32 v73, 0x3ee437d1, v40, -v52
	v_fmac_f32_e32 v52, 0x3ee437d1, v40
	v_add_f32_e32 v50, v54, v50
	v_add_f32_e32 v54, v72, v70
	v_fma_f32 v70, 0xbf59a7d5, v40, -v51
	v_fmac_f32_e32 v51, 0xbf59a7d5, v40
	v_add_f32_e32 v52, v52, v71
	v_mul_f32_e32 v71, 0x3f4c4adb, v39
	v_mul_f32_e32 v39, 0x3f2c7751, v39
	v_sub_f32_e32 v25, v25, v27
	v_add_f32_e32 v56, v78, v56
	v_add_f32_e32 v51, v51, v69
	v_fma_f32 v27, 0xbf1a4643, v40, -v71
	v_fmac_f32_e32 v71, 0xbf1a4643, v40
	v_fma_f32 v69, 0x3f3d2fb0, v40, -v39
	v_add_f32_e32 v26, v26, v28
	v_mul_f32_e32 v28, 0xbf763a35, v25
	v_fmac_f32_e32 v39, 0x3f3d2fb0, v40
	v_add_f32_e32 v27, v27, v41
	v_add_f32_e32 v40, v71, v56
	;; [unrolled: 1-line block ×3, first 2 shown]
	v_fma_f32 v44, 0xbe8c1d8e, v26, -v28
	v_mul_f32_e32 v56, 0x3f06c442, v25
	v_add_f32_e32 v39, v39, v43
	v_fmac_f32_e32 v28, 0xbe8c1d8e, v26
	v_mul_f32_e32 v43, 0x3f2c7751, v25
	v_add_f32_e32 v76, v76, v84
	v_add_f32_e32 v44, v44, v55
	v_fma_f32 v55, 0xbf59a7d5, v26, -v56
	v_add_f32_e32 v28, v28, v42
	v_fma_f32 v42, 0x3f3d2fb0, v26, -v43
	v_mul_f32_e32 v69, 0xbf65296c, v25
	v_fmac_f32_e32 v43, 0x3f3d2fb0, v26
	v_add_f32_e32 v74, v77, v76
	v_fmac_f32_e32 v56, 0xbf59a7d5, v26
	v_add_f32_e32 v53, v55, v53
	v_add_f32_e32 v42, v42, v48
	v_fma_f32 v48, 0x3ee437d1, v26, -v69
	v_mul_f32_e32 v55, 0xbe3c28d5, v25
	v_fmac_f32_e32 v69, 0x3ee437d1, v26
	v_add_f32_e32 v43, v43, v49
	v_mul_f32_e32 v49, 0x3f7ee86f, v25
	v_add_f32_e32 v70, v70, v74
	v_add_f32_e32 v47, v56, v47
	;; [unrolled: 1-line block ×3, first 2 shown]
	v_fma_f32 v50, 0xbf7ba420, v26, -v55
	v_add_f32_e32 v54, v69, v54
	v_fmac_f32_e32 v55, 0xbf7ba420, v26
	v_fma_f32 v56, 0x3dbcf732, v26, -v49
	v_mul_f32_e32 v69, 0xbeb8f4ab, v25
	v_mul_f32_e32 v25, 0xbf4c4adb, v25
	v_sub_f32_e32 v17, v17, v23
	v_add_f32_e32 v52, v55, v52
	v_add_f32_e32 v55, v56, v70
	v_fma_f32 v56, 0x3f6eb680, v26, -v69
	v_add_f32_e32 v18, v18, v24
	v_mul_f32_e32 v24, 0xbf4c4adb, v17
	v_fmac_f32_e32 v49, 0x3dbcf732, v26
	v_fmac_f32_e32 v69, 0x3f6eb680, v26
	v_add_f32_e32 v23, v56, v27
	v_fma_f32 v27, 0xbf1a4643, v26, -v25
	v_fmac_f32_e32 v25, 0xbf1a4643, v26
	v_add_f32_e32 v49, v49, v51
	v_sub_f32_e32 v13, v13, v15
	v_add_f32_e32 v40, v69, v40
	v_add_f32_e32 v26, v27, v41
	v_mul_f32_e32 v27, 0x3f763a35, v17
	v_fma_f32 v41, 0xbf1a4643, v18, -v24
	v_fmac_f32_e32 v24, 0xbf1a4643, v18
	v_add_f32_e32 v25, v25, v39
	v_mul_f32_e32 v39, 0xbeb8f4ab, v17
	v_fma_f32 v51, 0xbe8c1d8e, v18, -v27
	v_add_f32_e32 v41, v41, v44
	v_add_f32_e32 v24, v24, v28
	v_fmac_f32_e32 v27, 0xbe8c1d8e, v18
	v_fma_f32 v28, 0x3f6eb680, v18, -v39
	v_add_f32_e32 v44, v51, v53
	v_mul_f32_e32 v51, 0xbf06c442, v17
	v_fmac_f32_e32 v39, 0x3f6eb680, v18
	v_add_f32_e32 v27, v27, v47
	v_add_f32_e32 v28, v28, v42
	v_mul_f32_e32 v42, 0x3f7ee86f, v17
	v_fma_f32 v47, 0xbf59a7d5, v18, -v51
	v_add_f32_e32 v39, v39, v43
	v_fmac_f32_e32 v51, 0xbf59a7d5, v18
	v_mul_f32_e32 v43, 0xbf2c7751, v17
	v_fma_f32 v53, 0x3dbcf732, v18, -v42
	v_fmac_f32_e32 v42, 0x3dbcf732, v18
	v_add_f32_e32 v47, v47, v48
	v_add_f32_e32 v48, v51, v54
	v_fma_f32 v51, 0x3f3d2fb0, v18, -v43
	v_fmac_f32_e32 v43, 0x3f3d2fb0, v18
	v_add_f32_e32 v42, v42, v52
	v_mul_f32_e32 v52, 0xbe3c28d5, v17
	v_mul_f32_e32 v17, 0x3f65296c, v17
	v_add_f32_e32 v14, v14, v16
	v_add_f32_e32 v43, v43, v49
	v_mul_f32_e32 v16, 0xbf06c442, v13
	v_fma_f32 v15, 0xbf7ba420, v18, -v52
	v_fmac_f32_e32 v52, 0xbf7ba420, v18
	v_fma_f32 v49, 0x3ee437d1, v18, -v17
	v_fmac_f32_e32 v17, 0x3ee437d1, v18
	v_add_f32_e32 v68, v73, v68
	v_add_f32_e32 v15, v15, v23
	;; [unrolled: 1-line block ×4, first 2 shown]
	v_fma_f32 v26, 0xbf59a7d5, v14, -v16
	v_mul_f32_e32 v40, 0x3f65296c, v13
	v_add_f32_e32 v17, v17, v25
	v_fmac_f32_e32 v16, 0xbf59a7d5, v14
	v_mul_f32_e32 v25, 0xbf7ee86f, v13
	v_add_f32_e32 v26, v26, v41
	v_fma_f32 v41, 0x3ee437d1, v14, -v40
	v_fmac_f32_e32 v40, 0x3ee437d1, v14
	v_add_f32_e32 v16, v16, v24
	v_fma_f32 v24, 0x3dbcf732, v14, -v25
	v_mul_f32_e32 v49, 0x3f4c4adb, v13
	v_add_f32_e32 v50, v50, v68
	v_add_f32_e32 v27, v40, v27
	v_mul_f32_e32 v40, 0xbeb8f4ab, v13
	v_add_f32_e32 v24, v24, v28
	v_fma_f32 v28, 0xbf1a4643, v14, -v49
	v_fmac_f32_e32 v49, 0xbf1a4643, v14
	v_add_f32_e32 v50, v53, v50
	v_add_f32_e32 v41, v41, v44
	v_fmac_f32_e32 v25, 0x3dbcf732, v14
	v_add_f32_e32 v44, v28, v47
	v_fma_f32 v28, 0x3f6eb680, v14, -v40
	v_add_f32_e32 v47, v49, v48
	v_mul_f32_e32 v49, 0x3f2c7751, v13
	v_add_f32_e32 v25, v25, v39
	v_mul_f32_e32 v39, 0xbe3c28d5, v13
	;; [unrolled: 2-line block ×3, first 2 shown]
	v_fma_f32 v28, 0x3f3d2fb0, v14, -v49
	v_sub_f32_e32 v9, v9, v11
	v_fmac_f32_e32 v40, 0x3f6eb680, v14
	v_fma_f32 v48, 0xbf7ba420, v14, -v39
	v_fmac_f32_e32 v39, 0xbf7ba420, v14
	v_add_f32_e32 v11, v28, v15
	v_fma_f32 v15, 0xbe8c1d8e, v14, -v13
	v_fmac_f32_e32 v49, 0x3f3d2fb0, v14
	v_add_f32_e32 v10, v10, v12
	v_mul_f32_e32 v12, 0xbe3c28d5, v9
	v_fmac_f32_e32 v13, 0xbe8c1d8e, v14
	v_add_f32_e32 v14, v15, v23
	v_mul_f32_e32 v15, 0x3eb8f4ab, v9
	v_add_f32_e32 v39, v39, v43
	v_add_f32_e32 v43, v49, v18
	v_fma_f32 v18, 0xbf7ba420, v10, -v12
	v_fmac_f32_e32 v12, 0xbf7ba420, v10
	v_add_f32_e32 v13, v13, v17
	v_mul_f32_e32 v17, 0xbf06c442, v9
	v_fma_f32 v23, 0x3f6eb680, v10, -v15
	v_add_f32_e32 v26, v18, v26
	v_add_f32_e32 v18, v12, v16
	v_fmac_f32_e32 v15, 0x3f6eb680, v10
	v_fma_f32 v12, 0xbf59a7d5, v10, -v17
	v_add_f32_e32 v16, v23, v41
	v_mul_f32_e32 v23, 0x3f2c7751, v9
	v_fmac_f32_e32 v17, 0xbf59a7d5, v10
	v_add_f32_e32 v51, v51, v55
	v_add_f32_e32 v28, v15, v27
	;; [unrolled: 1-line block ×3, first 2 shown]
	v_mul_f32_e32 v15, 0xbf4c4adb, v9
	v_fma_f32 v24, 0x3f3d2fb0, v10, -v23
	v_add_f32_e32 v17, v17, v25
	v_mul_f32_e32 v25, 0x3f65296c, v9
	v_add_f32_e32 v40, v40, v42
	v_add_f32_e32 v42, v48, v51
	v_fma_f32 v27, 0xbf1a4643, v10, -v15
	v_add_f32_e32 v24, v24, v44
	v_fmac_f32_e32 v15, 0xbf1a4643, v10
	v_fma_f32 v41, 0x3ee437d1, v10, -v25
	v_mul_f32_e32 v44, 0xbf763a35, v9
	v_mul_f32_e32 v9, 0x3f7ee86f, v9
	v_fmac_f32_e32 v23, 0x3f3d2fb0, v10
	v_add_f32_e32 v15, v15, v40
	v_add_f32_e32 v40, v41, v42
	v_fma_f32 v41, 0xbe8c1d8e, v10, -v44
	v_fmac_f32_e32 v25, 0x3ee437d1, v10
	v_fmac_f32_e32 v44, 0xbe8c1d8e, v10
	v_fma_f32 v42, 0x3dbcf732, v10, -v9
	v_fmac_f32_e32 v9, 0x3dbcf732, v10
	v_add_f32_e32 v27, v27, v50
	v_add_f32_e32 v11, v41, v11
	v_add_f32_e32 v23, v23, v47
	v_add_f32_e32 v10, v25, v39
	v_add_f32_e32 v25, v44, v43
	v_add_f32_e32 v14, v42, v14
	v_add_f32_e32 v9, v9, v13
	s_waitcnt lgkmcnt(0)
	s_barrier
	buffer_gl0_inv
	ds_write2_b32 v8, v46, v26 offset1:1
	ds_write2_b32 v8, v16, v12 offset0:2 offset1:3
	ds_write2_b32 v8, v24, v27 offset0:4 offset1:5
	;; [unrolled: 1-line block ×7, first 2 shown]
	ds_write_b32 v8, v18 offset:64
	s_waitcnt lgkmcnt(0)
	s_barrier
	buffer_gl0_inv
	ds_read2_b32 v[12:13], v0 offset1:85
	ds_read2_b32 v[10:11], v62 offset0:42 offset1:161
	ds_read2_b32 v[25:26], v63 offset0:66 offset1:151
	ds_read2_b32 v[8:9], v64 offset0:108 offset1:227
	ds_read2_b32 v[23:24], v65 offset0:132 offset1:217
	ds_read2_b32 v[16:17], v66 offset0:118 offset1:203
	ds_read2_b32 v[14:15], v67 offset0:56 offset1:141
	ds_read_b32 v27, v0 offset:5304
                                        ; implicit-def: $vgpr49
                                        ; implicit-def: $vgpr50
                                        ; implicit-def: $vgpr51
	s_and_saveexec_b32 s1, s0
	s_cbranch_execz .LBB0_17
; %bb.16:
	ds_read_b32 v28, v0 offset:1020
	ds_read_b32 v18, v0 offset:2176
	;; [unrolled: 1-line block ×5, first 2 shown]
.LBB0_17:
	s_or_b32 exec_lo, exec_lo, s1
	v_and_b32_e32 v39, 0xff, v7
	v_add_nc_u32_e32 v40, 0xff, v7
	v_mov_b32_e32 v41, 0xf0f1
	v_add_nc_u16 v43, v7, 0x55
	v_mov_b32_e32 v46, 5
	v_mul_lo_u16 v39, 0xf1, v39
	v_add_nc_u16 v56, v7, 0xaa
	v_lshrrev_b16 v42, 12, v39
	v_mul_u32_u24_sdwa v39, v40, v41 dst_sel:DWORD dst_unused:UNUSED_PAD src0_sel:WORD_0 src1_sel:DWORD
	v_mul_lo_u16 v41, v42, 17
	v_lshrrev_b32_e32 v44, 20, v39
	v_and_b32_e32 v39, 0xff, v43
	v_sub_nc_u16 v41, v7, v41
	v_mul_lo_u16 v47, v44, 17
	v_mul_lo_u16 v62, 0xf1, v39
	v_lshlrev_b32_sdwa v48, v46, v41 dst_sel:DWORD dst_unused:UNUSED_PAD src0_sel:DWORD src1_sel:BYTE_0
	v_sub_nc_u16 v39, v40, v47
	v_and_b32_e32 v40, 0xff, v56
	v_lshrrev_b16 v47, 12, v62
	s_clause 0x1
	global_load_dwordx4 v[52:55], v48, s[12:13]
	global_load_dwordx4 v[69:72], v48, s[12:13] offset:16
	v_mul_lo_u16 v40, 0xf1, v40
	v_mul_lo_u16 v48, v47, 17
	v_lshlrev_b32_sdwa v62, v46, v39 dst_sel:DWORD dst_unused:UNUSED_PAD src0_sel:DWORD src1_sel:WORD_0
	v_lshrrev_b16 v63, 12, v40
	v_sub_nc_u16 v43, v43, v48
	s_clause 0x1
	global_load_dwordx4 v[73:76], v62, s[12:13]
	global_load_dwordx4 v[77:80], v62, s[12:13] offset:16
	v_mul_lo_u16 v40, v63, 17
	v_lshlrev_b32_sdwa v48, v46, v43 dst_sel:DWORD dst_unused:UNUSED_PAD src0_sel:DWORD src1_sel:BYTE_0
	global_load_dwordx4 v[81:84], v48, s[12:13]
	v_sub_nc_u16 v62, v56, v40
	v_mov_b32_e32 v56, 2
	v_lshlrev_b32_sdwa v40, v46, v62 dst_sel:DWORD dst_unused:UNUSED_PAD src0_sel:DWORD src1_sel:BYTE_0
	s_clause 0x2
	global_load_dwordx4 v[85:88], v48, s[12:13] offset:16
	global_load_dwordx4 v[89:92], v40, s[12:13]
	global_load_dwordx4 v[93:96], v40, s[12:13] offset:16
	v_mov_b32_e32 v46, 0x154
	v_mul_lo_u16 v40, 0x55, v44
	v_lshlrev_b32_sdwa v43, v56, v43 dst_sel:DWORD dst_unused:UNUSED_PAD src0_sel:DWORD src1_sel:BYTE_0
	v_lshlrev_b32_sdwa v62, v56, v62 dst_sel:DWORD dst_unused:UNUSED_PAD src0_sel:DWORD src1_sel:BYTE_0
	;; [unrolled: 1-line block ×3, first 2 shown]
	v_mul_u32_u24_sdwa v44, v47, v46 dst_sel:DWORD dst_unused:UNUSED_PAD src0_sel:WORD_0 src1_sel:DWORD
	v_mul_u32_u24_sdwa v47, v63, v46 dst_sel:DWORD dst_unused:UNUSED_PAD src0_sel:WORD_0 src1_sel:DWORD
	;; [unrolled: 1-line block ×3, first 2 shown]
	s_waitcnt vmcnt(0) lgkmcnt(0)
	s_barrier
	v_add3_u32 v48, 0, v44, v43
	v_add3_u32 v44, 0, v47, v62
	;; [unrolled: 1-line block ×3, first 2 shown]
	buffer_gl0_inv
	v_mul_f32_e32 v65, v11, v53
	v_mul_f32_e32 v53, v20, v53
	v_mul_f32_e32 v66, v25, v55
	v_mul_f32_e32 v55, v31, v55
	v_mul_f32_e32 v67, v9, v70
	v_mul_f32_e32 v62, v30, v70
	v_mul_f32_e32 v68, v23, v72
	v_mul_f32_e32 v70, v33, v72
	v_fmac_f32_e32 v65, v20, v52
	v_mul_f32_e32 v72, v57, v74
	v_mul_f32_e32 v41, v18, v74
	;; [unrolled: 1-line block ×7, first 2 shown]
	v_fma_f32 v63, v11, v52, -v53
	v_fmac_f32_e32 v66, v31, v54
	v_fma_f32 v64, v25, v54, -v55
	v_fmac_f32_e32 v67, v30, v69
	v_fmac_f32_e32 v68, v33, v71
	v_mul_f32_e32 v52, v16, v82
	v_mul_f32_e32 v25, v26, v84
	v_fma_f32 v11, v18, v73, -v72
	v_fma_f32 v62, v9, v69, -v62
	;; [unrolled: 1-line block ×3, first 2 shown]
	v_mul_f32_e32 v53, v14, v86
	v_mul_f32_e32 v18, v8, v92
	;; [unrolled: 1-line block ×10, first 2 shown]
	v_fmac_f32_e32 v42, v61, v75
	v_fma_f32 v30, v51, v75, -v74
	v_mul_f32_e32 v51, v29, v92
	v_mul_f32_e32 v61, v36, v94
	v_fma_f32 v31, v50, v77, -v76
	v_fma_f32 v33, v49, v79, -v78
	v_fmac_f32_e32 v52, v37, v81
	v_fmac_f32_e32 v25, v32, v83
	;; [unrolled: 1-line block ×5, first 2 shown]
	v_fma_f32 v29, v27, v95, -v72
	v_add_f32_e32 v27, v66, v67
	v_sub_f32_e32 v36, v65, v66
	v_sub_f32_e32 v37, v68, v67
	;; [unrolled: 1-line block ×4, first 2 shown]
	v_mul_f32_e32 v70, v32, v84
	v_mul_f32_e32 v71, v35, v86
	v_fmac_f32_e32 v41, v57, v73
	v_mul_f32_e32 v57, v38, v90
	v_fmac_f32_e32 v54, v34, v87
	v_fmac_f32_e32 v9, v38, v89
	v_add_f32_e32 v38, v65, v68
	v_fmac_f32_e32 v23, v58, v95
	v_fma_f32 v16, v16, v81, -v69
	v_fma_f32 v24, v24, v87, -v80
	v_sub_f32_e32 v34, v63, v55
	v_fma_f32 v27, -0.5, v27, v21
	v_add_f32_e32 v36, v36, v37
	v_add_f32_e32 v37, v49, v50
	;; [unrolled: 1-line block ×3, first 2 shown]
	v_fmac_f32_e32 v47, v59, v79
	v_fma_f32 v26, v26, v83, -v70
	v_fma_f32 v32, v14, v85, -v71
	;; [unrolled: 1-line block ×3, first 2 shown]
	v_add_f32_e32 v17, v21, v65
	v_sub_f32_e32 v35, v64, v62
	v_fma_f32 v21, -0.5, v38, v21
	v_add_f32_e32 v38, v22, v52
	v_add_f32_e32 v59, v52, v54
	v_fmac_f32_e32 v43, v60, v77
	v_fma_f32 v8, v8, v91, -v51
	v_fma_f32 v15, v15, v93, -v61
	v_sub_f32_e32 v57, v52, v25
	v_sub_f32_e32 v58, v54, v53
	;; [unrolled: 1-line block ×4, first 2 shown]
	v_add_f32_e32 v70, v18, v20
	v_add_f32_e32 v75, v9, v23
	v_sub_f32_e32 v50, v16, v24
	v_fmamk_f32 v78, v34, 0xbf737871, v27
	v_fmac_f32_e32 v27, 0x3f737871, v34
	v_fma_f32 v49, -0.5, v49, v22
	v_sub_f32_e32 v51, v26, v32
	v_fmamk_f32 v79, v35, 0x3f737871, v21
	v_fmac_f32_e32 v21, 0xbf737871, v35
	v_add_f32_e32 v38, v38, v25
	v_fmac_f32_e32 v22, -0.5, v59
	v_add_f32_e32 v17, v17, v66
	v_add_f32_e32 v69, v19, v9
	v_sub_f32_e32 v71, v14, v29
	v_sub_f32_e32 v72, v8, v15
	;; [unrolled: 1-line block ×4, first 2 shown]
	v_add_f32_e32 v57, v57, v58
	v_add_f32_e32 v58, v60, v61
	v_fma_f32 v60, -0.5, v70, v19
	v_fmac_f32_e32 v19, -0.5, v75
	v_fmac_f32_e32 v78, 0xbf167918, v35
	v_fmac_f32_e32 v27, 0x3f167918, v35
	v_fmamk_f32 v35, v50, 0xbf737871, v49
	v_fmac_f32_e32 v79, 0xbf167918, v34
	v_fmac_f32_e32 v21, 0x3f167918, v34
	v_add_f32_e32 v34, v38, v53
	v_fmamk_f32 v38, v51, 0x3f737871, v22
	v_fmac_f32_e32 v22, 0xbf737871, v51
	v_sub_f32_e32 v76, v18, v9
	v_sub_f32_e32 v77, v20, v23
	v_add_f32_e32 v17, v17, v67
	v_add_f32_e32 v59, v69, v18
	;; [unrolled: 1-line block ×3, first 2 shown]
	v_fmac_f32_e32 v49, 0x3f737871, v50
	v_fmamk_f32 v70, v71, 0xbf737871, v60
	v_fmac_f32_e32 v60, 0x3f737871, v71
	v_fmamk_f32 v73, v72, 0x3f737871, v19
	v_fmac_f32_e32 v19, 0xbf737871, v72
	v_fmac_f32_e32 v35, 0xbf167918, v51
	;; [unrolled: 1-line block ×4, first 2 shown]
	v_add_f32_e32 v69, v76, v77
	v_add_f32_e32 v17, v17, v68
	;; [unrolled: 1-line block ×3, first 2 shown]
	v_fmac_f32_e32 v78, 0x3e9e377a, v36
	v_fmac_f32_e32 v49, 0x3f167918, v51
	;; [unrolled: 1-line block ×9, first 2 shown]
	v_add_f32_e32 v34, v34, v54
	v_fmac_f32_e32 v35, 0x3e9e377a, v57
	v_fmac_f32_e32 v38, 0x3e9e377a, v58
	;; [unrolled: 1-line block ×3, first 2 shown]
	v_add_f32_e32 v36, v59, v23
	v_fmac_f32_e32 v49, 0x3e9e377a, v57
	v_fmac_f32_e32 v70, 0x3e9e377a, v61
	;; [unrolled: 1-line block ×5, first 2 shown]
	ds_write2_b32 v46, v17, v78 offset1:17
	ds_write2_b32 v46, v79, v21 offset0:34 offset1:51
	ds_write_b32 v46, v27 offset:272
	ds_write2_b32 v48, v34, v35 offset1:17
	ds_write2_b32 v48, v38, v22 offset0:34 offset1:51
	ds_write_b32 v48, v49 offset:272
	;; [unrolled: 3-line block ×3, first 2 shown]
	s_and_saveexec_b32 s1, s0
	s_cbranch_execz .LBB0_19
; %bb.18:
	v_add_f32_e32 v22, v42, v43
	v_add_f32_e32 v17, v41, v47
	v_sub_f32_e32 v19, v42, v41
	v_sub_f32_e32 v21, v43, v47
	;; [unrolled: 1-line block ×3, first 2 shown]
	v_fma_f32 v22, -0.5, v22, v45
	v_add_f32_e32 v38, v45, v41
	v_sub_f32_e32 v27, v30, v31
	v_fma_f32 v17, -0.5, v17, v45
	v_sub_f32_e32 v35, v41, v42
	v_sub_f32_e32 v36, v47, v43
	v_add_f32_e32 v19, v19, v21
	v_fmamk_f32 v21, v34, 0x3f737871, v22
	v_fmac_f32_e32 v22, 0xbf737871, v34
	v_add_f32_e32 v38, v38, v42
	v_fmamk_f32 v37, v27, 0xbf737871, v17
	v_fmac_f32_e32 v17, 0x3f737871, v27
	v_add_f32_e32 v35, v35, v36
	v_fmac_f32_e32 v22, 0xbf167918, v27
	v_add_f32_e32 v36, v38, v43
	v_lshlrev_b32_sdwa v38, v56, v39 dst_sel:DWORD dst_unused:UNUSED_PAD src0_sel:DWORD src1_sel:WORD_0
	v_lshlrev_b32_sdwa v45, v56, v40 dst_sel:DWORD dst_unused:UNUSED_PAD src0_sel:DWORD src1_sel:WORD_0
	v_fmac_f32_e32 v37, 0x3f167918, v34
	v_fmac_f32_e32 v17, 0xbf167918, v34
	v_fmac_f32_e32 v21, 0x3f167918, v27
	v_fmac_f32_e32 v22, 0x3e9e377a, v35
	v_add_f32_e32 v27, v36, v47
	v_add3_u32 v34, 0, v38, v45
	v_fmac_f32_e32 v37, 0x3e9e377a, v19
	v_fmac_f32_e32 v17, 0x3e9e377a, v19
	;; [unrolled: 1-line block ×3, first 2 shown]
	ds_write2_b32 v34, v27, v22 offset1:17
	ds_write2_b32 v34, v17, v37 offset0:34 offset1:51
	ds_write_b32 v34, v21 offset:272
.LBB0_19:
	s_or_b32 exec_lo, exec_lo, s1
	v_add_f32_e32 v17, v64, v62
	v_add_f32_e32 v19, v12, v63
	v_sub_f32_e32 v21, v65, v68
	v_sub_f32_e32 v27, v63, v64
	v_add_f32_e32 v35, v63, v55
	v_fma_f32 v34, -0.5, v17, v12
	v_sub_f32_e32 v17, v55, v62
	v_add_f32_e32 v19, v19, v64
	v_sub_f32_e32 v22, v66, v67
	v_fma_f32 v35, -0.5, v35, v12
	v_fmamk_f32 v37, v21, 0x3f737871, v34
	v_add_f32_e32 v12, v27, v17
	v_add_f32_e32 v17, v19, v62
	v_fmac_f32_e32 v34, 0xbf737871, v21
	v_add_f32_e32 v19, v13, v16
	v_sub_f32_e32 v36, v64, v63
	v_sub_f32_e32 v38, v62, v55
	v_fmac_f32_e32 v37, 0x3f167918, v22
	v_fmamk_f32 v45, v22, 0xbf737871, v35
	v_fmac_f32_e32 v34, 0xbf167918, v22
	v_fmac_f32_e32 v35, 0x3f737871, v22
	v_add_f32_e32 v19, v19, v26
	v_add_f32_e32 v22, v26, v32
	;; [unrolled: 1-line block ×3, first 2 shown]
	v_fmac_f32_e32 v37, 0x3e9e377a, v12
	v_fmac_f32_e32 v45, 0x3f167918, v21
	v_add_f32_e32 v17, v36, v38
	v_fmac_f32_e32 v34, 0x3e9e377a, v12
	v_fmac_f32_e32 v35, 0xbf167918, v21
	v_add_f32_e32 v12, v19, v32
	v_fma_f32 v36, -0.5, v22, v13
	v_add_f32_e32 v19, v16, v24
	v_sub_f32_e32 v21, v52, v54
	v_fmac_f32_e32 v45, 0x3e9e377a, v17
	v_add_f32_e32 v38, v12, v24
	v_sub_f32_e32 v12, v25, v53
	v_fmac_f32_e32 v13, -0.5, v19
	v_fmamk_f32 v50, v21, 0x3f737871, v36
	v_fmac_f32_e32 v36, 0xbf737871, v21
	v_fmac_f32_e32 v35, 0x3e9e377a, v17
	v_sub_f32_e32 v17, v16, v26
	v_sub_f32_e32 v19, v24, v32
	v_fmamk_f32 v51, v12, 0xbf737871, v13
	v_sub_f32_e32 v16, v26, v16
	v_sub_f32_e32 v22, v32, v24
	v_fmac_f32_e32 v50, 0x3f167918, v12
	v_fmac_f32_e32 v36, 0xbf167918, v12
	;; [unrolled: 1-line block ×3, first 2 shown]
	v_add_f32_e32 v12, v8, v15
	v_add_f32_e32 v17, v17, v19
	v_fmac_f32_e32 v51, 0x3f167918, v21
	v_add_f32_e32 v16, v16, v22
	v_fmac_f32_e32 v13, 0xbf167918, v21
	v_fma_f32 v52, -0.5, v12, v10
	v_add_f32_e32 v12, v14, v29
	v_sub_f32_e32 v53, v9, v23
	v_fmac_f32_e32 v50, 0x3e9e377a, v17
	v_fmac_f32_e32 v36, 0x3e9e377a, v17
	v_add_f32_e32 v17, v10, v14
	v_fmac_f32_e32 v51, 0x3e9e377a, v16
	v_fmac_f32_e32 v13, 0x3e9e377a, v16
	v_sub_f32_e32 v16, v18, v20
	v_fmac_f32_e32 v10, -0.5, v12
	v_fmamk_f32 v54, v53, 0x3f737871, v52
	v_fmac_f32_e32 v52, 0xbf737871, v53
	v_add_f32_e32 v9, v17, v8
	v_sub_f32_e32 v12, v14, v8
	v_sub_f32_e32 v17, v29, v15
	v_fmamk_f32 v55, v16, 0xbf737871, v10
	v_fmac_f32_e32 v54, 0x3f167918, v16
	v_fmac_f32_e32 v52, 0xbf167918, v16
	;; [unrolled: 1-line block ×3, first 2 shown]
	v_add_nc_u32_e32 v16, 0x800, v0
	v_add_f32_e32 v57, v12, v17
	v_add_nc_u32_e32 v12, 0x200, v0
	v_add_nc_u32_e32 v17, 0xa00, v0
	v_lshl_add_u32 v32, v7, 2, 0
	v_add_nc_u32_e32 v22, 0xc00, v0
	v_sub_f32_e32 v58, v8, v14
	v_add_nc_u32_e32 v14, 0x400, v0
	v_add_nc_u32_e32 v24, 0x1000, v0
	;; [unrolled: 1-line block ×3, first 2 shown]
	v_add_f32_e32 v56, v9, v15
	v_sub_f32_e32 v59, v15, v29
	s_waitcnt lgkmcnt(0)
	s_barrier
	buffer_gl0_inv
	ds_read2_b32 v[8:9], v0 offset1:85
	ds_read2_b32 v[20:21], v12 offset0:42 offset1:212
	ds_read_b32 v12, v32 offset:1020
	ds_read2_b32 v[14:15], v14 offset0:169 offset1:254
	ds_read2_b32 v[18:19], v16 offset0:83 offset1:168
	;; [unrolled: 1-line block ×6, first 2 shown]
	v_fmac_f32_e32 v55, 0x3f167918, v53
	v_add_f32_e32 v58, v58, v59
	v_fmac_f32_e32 v10, 0xbf167918, v53
	v_add_f32_e32 v29, v56, v29
	v_fmac_f32_e32 v54, 0x3e9e377a, v57
	v_fmac_f32_e32 v52, 0x3e9e377a, v57
	;; [unrolled: 1-line block ×4, first 2 shown]
	s_waitcnt lgkmcnt(0)
	s_barrier
	buffer_gl0_inv
	ds_write2_b32 v46, v49, v37 offset1:17
	ds_write2_b32 v46, v45, v35 offset0:34 offset1:51
	ds_write_b32 v46, v34 offset:272
	ds_write2_b32 v48, v38, v50 offset1:17
	ds_write2_b32 v48, v51, v13 offset0:34 offset1:51
	ds_write_b32 v48, v36 offset:272
	;; [unrolled: 3-line block ×3, first 2 shown]
	s_and_saveexec_b32 s1, s0
	s_cbranch_execz .LBB0_21
; %bb.20:
	v_add_f32_e32 v10, v28, v11
	v_add_f32_e32 v13, v30, v31
	;; [unrolled: 1-line block ×3, first 2 shown]
	v_sub_f32_e32 v29, v41, v47
	v_sub_f32_e32 v34, v42, v43
	v_add_f32_e32 v10, v10, v30
	v_fma_f32 v13, -0.5, v13, v28
	v_sub_f32_e32 v36, v11, v30
	v_sub_f32_e32 v37, v33, v31
	v_fmac_f32_e32 v28, -0.5, v35
	v_add_f32_e32 v10, v10, v31
	v_fmamk_f32 v35, v29, 0x3f737871, v13
	v_sub_f32_e32 v11, v30, v11
	v_sub_f32_e32 v30, v31, v33
	v_mov_b32_e32 v31, 2
	v_add_f32_e32 v36, v36, v37
	v_fmamk_f32 v37, v34, 0xbf737871, v28
	v_fmac_f32_e32 v28, 0x3f737871, v34
	v_fmac_f32_e32 v13, 0xbf737871, v29
	;; [unrolled: 1-line block ×3, first 2 shown]
	v_add_f32_e32 v11, v11, v30
	v_lshlrev_b32_sdwa v30, v31, v39 dst_sel:DWORD dst_unused:UNUSED_PAD src0_sel:DWORD src1_sel:WORD_0
	v_lshlrev_b32_sdwa v31, v31, v40 dst_sel:DWORD dst_unused:UNUSED_PAD src0_sel:DWORD src1_sel:WORD_0
	v_fmac_f32_e32 v37, 0x3f167918, v29
	v_fmac_f32_e32 v28, 0xbf167918, v29
	;; [unrolled: 1-line block ×3, first 2 shown]
	v_add_f32_e32 v10, v10, v33
	v_fmac_f32_e32 v35, 0x3e9e377a, v36
	v_add3_u32 v29, 0, v30, v31
	v_fmac_f32_e32 v37, 0x3e9e377a, v11
	v_fmac_f32_e32 v28, 0x3e9e377a, v11
	;; [unrolled: 1-line block ×3, first 2 shown]
	ds_write2_b32 v29, v10, v35 offset1:17
	ds_write2_b32 v29, v37, v28 offset0:34 offset1:51
	ds_write_b32 v29, v13 offset:272
.LBB0_21:
	s_or_b32 exec_lo, exec_lo, s1
	s_waitcnt lgkmcnt(0)
	s_barrier
	buffer_gl0_inv
	s_and_saveexec_b32 s0, vcc_lo
	s_cbranch_execz .LBB0_23
; %bb.22:
	v_lshlrev_b32_e32 v10, 4, v7
	v_mov_b32_e32 v11, 0
	v_add_nc_u32_e32 v7, 0x1200, v0
	v_add_nc_u32_e32 v39, 0x200, v0
	;; [unrolled: 1-line block ×3, first 2 shown]
	v_mul_lo_u32 v13, s3, v5
	v_lshlrev_b64 v[10:11], 3, v[10:11]
	v_mul_lo_u32 v40, s2, v6
	v_mad_u64_u32 v[5:6], null, s2, v5, 0
	v_add_co_u32 v10, vcc_lo, s12, v10
	v_add_co_ci_u32_e32 v11, vcc_lo, s13, v11, vcc_lo
	v_add3_u32 v6, v6, v40, v13
	s_clause 0x7
	global_load_dwordx4 v[28:31], v[10:11], off offset:656
	global_load_dwordx4 v[33:36], v[10:11], off offset:544
	;; [unrolled: 1-line block ×8, first 2 shown]
	ds_read2_b32 v[10:11], v0 offset1:85
	ds_read2_b32 v[37:38], v7 offset0:123 offset1:208
	v_add_nc_u32_e32 v7, 0x1000, v0
	ds_read2_b32 v[83:84], v39 offset0:42 offset1:212
	ds_read_b32 v32, v32 offset:1020
	v_add_nc_u32_e32 v39, 0xc00, v0
	ds_read2_b32 v[85:86], v7 offset0:81 offset1:166
	v_add_nc_u32_e32 v7, 0xa00, v0
	v_add_nc_u32_e32 v0, 0x800, v0
	ds_read2_b32 v[87:88], v39 offset0:167 offset1:252
	ds_read2_b32 v[89:90], v41 offset0:169 offset1:254
	;; [unrolled: 1-line block ×4, first 2 shown]
	s_waitcnt vmcnt(7)
	v_mul_f32_e32 v0, v27, v31
	s_waitcnt vmcnt(6)
	v_mul_f32_e32 v7, v9, v34
	s_waitcnt lgkmcnt(8)
	v_mul_f32_e32 v82, v11, v34
	s_waitcnt lgkmcnt(7)
	v_mul_f32_e32 v40, v38, v31
	v_mul_f32_e32 v13, v26, v29
	;; [unrolled: 1-line block ×3, first 2 shown]
	v_fma_f32 v44, v38, v30, -v0
	v_fma_f32 v167, v11, v33, -v7
	s_waitcnt lgkmcnt(6)
	v_mul_f32_e32 v77, v83, v36
	v_mul_f32_e32 v41, v37, v29
	s_waitcnt vmcnt(5) lgkmcnt(4)
	v_mul_f32_e32 v42, v86, v64
	v_mul_f32_e32 v36, v24, v62
	v_fma_f32 v46, v37, v28, -v13
	v_fmac_f32_e32 v40, v27, v30
	v_fmac_f32_e32 v82, v9, v33
	v_fma_f32 v161, v83, v35, -v31
	v_add_f32_e32 v174, v44, v167
	v_sub_f32_e32 v170, v167, v44
	v_mul_f32_e32 v29, v25, v64
	s_waitcnt vmcnt(4)
	v_mul_f32_e32 v34, v12, v56
	v_mul_f32_e32 v59, v32, v56
	s_waitcnt vmcnt(3)
	v_mul_f32_e32 v54, v23, v68
	v_fmac_f32_e32 v41, v26, v28
	v_fmac_f32_e32 v77, v20, v35
	;; [unrolled: 1-line block ×3, first 2 shown]
	v_fma_f32 v25, v85, v61, -v36
	v_sub_f32_e32 v38, v82, v40
	v_add_f32_e32 v173, v46, v161
	v_add_f32_e32 v36, v40, v82
	v_sub_f32_e32 v169, v161, v46
	v_mul_f32_e32 v160, 0xbe3c28d5, v170
	v_mul_f32_e32 v129, 0xbf59a7d5, v174
	;; [unrolled: 1-line block ×4, first 2 shown]
	s_waitcnt vmcnt(2) lgkmcnt(2)
	v_mul_f32_e32 v52, v89, v70
	v_mul_f32_e32 v45, v88, v68
	s_waitcnt vmcnt(0)
	v_mul_f32_e32 v68, v18, v79
	v_fma_f32 v48, v86, v63, -v29
	v_fma_f32 v158, v32, v55, -v34
	v_fmac_f32_e32 v59, v12, v55
	v_fma_f32 v26, v88, v67, -v54
	v_sub_f32_e32 v37, v77, v41
	v_add_f32_e32 v35, v41, v77
	v_mul_f32_e32 v166, 0xbf7ba420, v174
	v_mul_f32_e32 v157, 0x3eb8f4ab, v169
	v_mul_f32_e32 v116, 0x3ee437d1, v173
	v_mul_f32_e32 v115, 0xbf06c442, v170
	v_mul_f32_e32 v88, 0xbf1a4643, v174
	v_mul_f32_e32 v134, 0xbf4c4adb, v170
	v_fmamk_f32 v12, v36, 0xbf7ba420, v160
	v_fmamk_f32 v177, v38, 0x3f06c442, v129
	v_mul_f32_e32 v56, v84, v58
	v_mul_f32_e32 v58, v14, v70
	s_waitcnt lgkmcnt(0)
	v_mul_f32_e32 v50, v93, v79
	v_mul_f32_e32 v70, v16, v74
	v_fma_f32 v144, v84, v57, -v39
	v_fmac_f32_e32 v43, v24, v61
	v_fmac_f32_e32 v52, v14, v69
	v_fma_f32 v110, v93, v78, -v68
	v_add_f32_e32 v24, v48, v158
	v_sub_f32_e32 v168, v158, v48
	v_mul_f32_e32 v156, 0x3f6eb680, v173
	v_mul_f32_e32 v107, 0x3f65296c, v169
	;; [unrolled: 1-line block ×10, first 2 shown]
	v_fmamk_f32 v11, v38, 0x3e3c28d5, v166
	v_fmamk_f32 v14, v35, 0x3f6eb680, v157
	;; [unrolled: 1-line block ×6, first 2 shown]
	v_add_f32_e32 v12, v8, v12
	v_add_f32_e32 v177, v10, v177
	v_mul_f32_e32 v62, v22, v66
	v_mul_f32_e32 v64, v15, v72
	;; [unrolled: 1-line block ×4, first 2 shown]
	v_fmac_f32_e32 v56, v21, v57
	v_fma_f32 v142, v89, v69, -v58
	v_fmac_f32_e32 v45, v23, v67
	v_fma_f32 v89, v91, v73, -v70
	v_sub_f32_e32 v29, v59, v42
	v_add_f32_e32 v23, v25, v144
	v_add_f32_e32 v34, v42, v59
	v_sub_f32_e32 v165, v144, v25
	v_mul_f32_e32 v154, 0xbf59a7d5, v24
	v_mul_f32_e32 v155, 0xbf06c442, v168
	v_mul_f32_e32 v130, 0x3dbcf732, v24
	v_mul_f32_e32 v108, 0xbf7ee86f, v168
	v_mul_f32_e32 v111, 0x3f6eb680, v24
	v_mul_f32_e32 v120, 0xbeb8f4ab, v168
	v_mul_f32_e32 v91, 0xbf59a7d5, v173
	v_mul_f32_e32 v123, 0x3f06c442, v169
	v_mul_f32_e32 v95, 0xbf7ba420, v173
	v_mul_f32_e32 v143, 0xbf4c4adb, v169
	v_fmamk_f32 v13, v37, 0xbeb8f4ab, v156
	v_fmamk_f32 v180, v35, 0x3ee437d1, v107
	v_fmamk_f32 v197, v37, 0xbf763a35, v85
	v_fmamk_f32 v199, v35, 0xbe8c1d8e, v119
	v_fmamk_f32 v205, v38, 0x3f763a35, v136
	v_fmamk_f32 v207, v36, 0xbe8c1d8e, v135
	v_fmamk_f32 v228, v38, 0x3f7ee86f, v99
	v_fmamk_f32 v230, v36, 0x3dbcf732, v153
	v_fmamk_f32 v233, v38, 0x3f65296c, v93
	v_fmamk_f32 v238, v36, 0x3ee437d1, v151
	v_add_f32_e32 v11, v10, v11
	v_add_f32_e32 v12, v12, v14
	;; [unrolled: 1-line block ×6, first 2 shown]
	v_mul_f32_e32 v47, v87, v66
	v_mul_f32_e32 v66, v17, v76
	;; [unrolled: 1-line block ×4, first 2 shown]
	v_fma_f32 v69, v87, v65, -v62
	v_fma_f32 v118, v90, v71, -v64
	v_fmac_f32_e32 v51, v15, v71
	v_fmac_f32_e32 v53, v16, v73
	v_sub_f32_e32 v28, v56, v43
	v_add_f32_e32 v171, v26, v142
	v_add_f32_e32 v33, v43, v56
	v_sub_f32_e32 v164, v142, v26
	v_mul_f32_e32 v152, 0x3f3d2fb0, v23
	v_mul_f32_e32 v131, 0xbf1a4643, v23
	;; [unrolled: 1-line block ×10, first 2 shown]
	v_fmamk_f32 v15, v29, 0x3f06c442, v154
	v_fmamk_f32 v16, v34, 0xbf59a7d5, v155
	;; [unrolled: 1-line block ×10, first 2 shown]
	v_add_f32_e32 v11, v11, v13
	v_add_f32_e32 v198, v10, v205
	;; [unrolled: 1-line block ×10, first 2 shown]
	v_mul_f32_e32 v60, v94, v81
	v_fmac_f32_e32 v47, v22, v65
	v_fma_f32 v83, v92, v75, -v66
	v_fmac_f32_e32 v49, v17, v75
	v_fma_f32 v103, v94, v80, -v72
	v_sub_f32_e32 v27, v52, v45
	v_add_f32_e32 v159, v69, v118
	v_add_f32_e32 v32, v45, v52
	v_sub_f32_e32 v163, v118, v69
	v_mul_f32_e32 v102, 0xbf1a4643, v171
	v_mul_f32_e32 v114, 0x3f2c7751, v165
	;; [unrolled: 1-line block ×10, first 2 shown]
	v_fmamk_f32 v17, v28, 0xbf2c7751, v152
	v_fmamk_f32 v186, v28, 0xbf4c4adb, v131
	v_fmamk_f32 v187, v33, 0xbf1a4643, v109
	v_fmamk_f32 v202, v28, 0x3f06c442, v112
	v_fmamk_f32 v203, v33, 0xbf59a7d5, v121
	v_fmamk_f32 v211, v29, 0xbf2c7751, v126
	v_fmamk_f32 v212, v34, 0x3f3d2fb0, v124
	v_fmamk_f32 v231, v35, 0xbf7ba420, v145
	v_fmamk_f32 v232, v29, 0xbf763a35, v137
	v_fmamk_f32 v13, v34, 0xbf7ba420, v101
	v_add_f32_e32 v196, v198, v206
	v_add_f32_e32 v197, v205, v208
	;; [unrolled: 1-line block ×10, first 2 shown]
	v_fmac_f32_e32 v50, v18, v78
	v_fmac_f32_e32 v60, v19, v80
	v_sub_f32_e32 v9, v51, v47
	v_add_f32_e32 v117, v83, v110
	v_add_f32_e32 v31, v47, v51
	v_sub_f32_e32 v162, v110, v83
	v_mul_f32_e32 v96, 0x3ee437d1, v159
	v_mul_f32_e32 v106, 0xbf4c4adb, v164
	;; [unrolled: 1-line block ×11, first 2 shown]
	v_fmamk_f32 v18, v33, 0x3f3d2fb0, v114
	v_fmamk_f32 v19, v27, 0x3f4c4adb, v102
	;; [unrolled: 1-line block ×10, first 2 shown]
	v_add_f32_e32 v199, v228, v231
	v_add_f32_e32 v179, v196, v211
	;; [unrolled: 1-line block ×10, first 2 shown]
	v_sub_f32_e32 v7, v50, v49
	v_add_f32_e32 v92, v89, v103
	v_add_f32_e32 v30, v49, v50
	v_sub_f32_e32 v172, v103, v89
	v_mul_f32_e32 v87, 0xbe8c1d8e, v117
	v_mul_f32_e32 v98, 0x3f65296c, v163
	;; [unrolled: 1-line block ×11, first 2 shown]
	v_fmamk_f32 v20, v32, 0xbf1a4643, v106
	v_fmamk_f32 v21, v9, 0xbf65296c, v96
	;; [unrolled: 1-line block ×11, first 2 shown]
	v_add_f32_e32 v184, v199, v234
	v_add_f32_e32 v12, v12, v18
	;; [unrolled: 1-line block ×10, first 2 shown]
	v_sub_f32_e32 v0, v60, v53
	v_add_f32_e32 v39, v53, v60
	v_mul_f32_e32 v78, 0xbf763a35, v162
	v_mul_f32_e32 v61, 0xbe8c1d8e, v92
	;; [unrolled: 1-line block ×11, first 2 shown]
	v_fmamk_f32 v22, v31, 0x3ee437d1, v98
	v_fmamk_f32 v176, v7, 0x3f763a35, v87
	;; [unrolled: 1-line block ×11, first 2 shown]
	v_add_f32_e32 v205, v230, v235
	v_add_f32_e32 v179, v184, v237
	;; [unrolled: 1-line block ×11, first 2 shown]
	v_mul_f32_e32 v55, 0x3dbcf732, v92
	v_mul_f32_e32 v65, 0x3f7ee86f, v172
	;; [unrolled: 1-line block ×8, first 2 shown]
	v_fmamk_f32 v181, v30, 0xbe8c1d8e, v78
	v_fmamk_f32 v194, v0, 0x3f763a35, v61
	;; [unrolled: 1-line block ×11, first 2 shown]
	v_add_f32_e32 v196, v205, v243
	v_add_f32_e32 v20, v179, v241
	;; [unrolled: 1-line block ×11, first 2 shown]
	v_mul_f32_e32 v58, 0x3f6eb680, v159
	v_fmamk_f32 v182, v0, 0xbf7ee86f, v55
	v_fmamk_f32 v185, v39, 0x3dbcf732, v65
	v_fmamk_f32 v226, v0, 0x3f4c4adb, v57
	v_fmamk_f32 v227, v39, 0xbf1a4643, v63
	v_fmamk_f32 v247, v30, 0xbf1a4643, v150
	v_fmamk_f32 v248, v0, 0xbf2c7751, v86
	v_fmamk_f32 v249, v27, 0xbf2c7751, v62
	v_add_f32_e32 v180, v196, v246
	v_add_f32_e32 v20, v20, v244
	;; [unrolled: 1-line block ×11, first 2 shown]
	v_fmamk_f32 v176, v32, 0x3f3d2fb0, v175
	v_mul_f32_e32 v181, 0xbeb8f4ab, v163
	v_mul_f32_e32 v90, 0x3f2c7751, v172
	;; [unrolled: 1-line block ×3, first 2 shown]
	v_add_f32_e32 v12, v11, v182
	v_add_f32_e32 v11, v21, v185
	;; [unrolled: 1-line block ×6, first 2 shown]
	v_fmamk_f32 v178, v9, 0x3eb8f4ab, v58
	v_add_f32_e32 v20, v19, v248
	v_add_f32_e32 v19, v22, v176
	v_fmamk_f32 v22, v31, 0x3f6eb680, v181
	v_mul_f32_e32 v182, 0xbf7ee86f, v162
	v_fmamk_f32 v250, v39, 0x3f3d2fb0, v90
	v_add_f32_e32 v177, v177, v178
	v_fmamk_f32 v178, v7, 0x3f7ee86f, v54
	v_mul_f32_e32 v176, 0xbf59a7d5, v92
	v_add_f32_e32 v22, v19, v22
	v_fmamk_f32 v179, v30, 0x3dbcf732, v182
	v_mul_f32_e32 v189, 0x3f3d2fb0, v174
	v_add_f32_e32 v177, v177, v178
	v_fmamk_f32 v178, v0, 0x3f06c442, v176
	v_add_f32_e32 v19, v21, v250
	v_add_f32_e32 v21, v22, v179
	v_fmamk_f32 v179, v38, 0x3f2c7751, v189
	v_mul_f32_e32 v190, 0x3dbcf732, v173
	v_mul_f32_e32 v186, 0xbf2c7751, v170
	v_add_f32_e32 v22, v177, v178
	v_mul_f32_e32 v193, 0xbf1a4643, v24
	v_add_f32_e32 v177, v10, v179
	v_fmamk_f32 v178, v37, 0x3f7ee86f, v190
	v_fmamk_f32 v179, v36, 0x3f3d2fb0, v186
	v_mul_f32_e32 v184, 0xbf7ee86f, v169
	v_fmamk_f32 v180, v29, 0x3f4c4adb, v193
	v_mul_f32_e32 v194, 0xbf7ba420, v23
	v_add_f32_e32 v178, v177, v178
	v_add_f32_e32 v179, v8, v179
	v_fmamk_f32 v187, v35, 0x3dbcf732, v184
	v_mul_f32_e32 v177, 0xbf4c4adb, v168
	v_fmamk_f32 v188, v28, 0x3e3c28d5, v194
	v_add_f32_e32 v180, v178, v180
	v_mul_f32_e32 v195, 0xbf59a7d5, v171
	v_add_f32_e32 v179, v179, v187
	v_fmamk_f32 v187, v34, 0xbf1a4643, v177
	v_mul_f32_e32 v178, 0xbe3c28d5, v165
	v_mul_f32_e32 v185, 0xbf06c442, v172
	v_add_f32_e32 v180, v180, v188
	v_fmamk_f32 v188, v27, 0xbf06c442, v195
	v_mul_f32_e32 v196, 0xbe8c1d8e, v159
	v_add_f32_e32 v191, v179, v187
	v_fmamk_f32 v192, v33, 0xbf7ba420, v178
	v_mul_f32_e32 v179, 0x3f06c442, v164
	v_fmamk_f32 v183, v39, 0xbf59a7d5, v185
	v_add_f32_e32 v188, v180, v188
	v_fmamk_f32 v197, v9, 0xbf763a35, v196
	v_mul_f32_e32 v187, 0x3ee437d1, v117
	v_add_f32_e32 v191, v191, v192
	v_fmamk_f32 v192, v32, 0xbf59a7d5, v179
	v_mul_f32_e32 v180, 0x3f763a35, v163
	v_add_f32_e32 v188, v188, v197
	v_fmamk_f32 v197, v7, 0xbf65296c, v187
	v_add_f32_e32 v21, v21, v183
	v_add_f32_e32 v191, v191, v192
	v_fmamk_f32 v198, v31, 0xbe8c1d8e, v180
	v_mul_f32_e32 v192, 0x3f6eb680, v174
	v_mul_f32_e32 v183, 0x3f65296c, v162
	;; [unrolled: 1-line block ×3, first 2 shown]
	v_add_f32_e32 v197, v188, v197
	v_add_f32_e32 v191, v191, v198
	v_mul_f32_e32 v188, 0x3f3d2fb0, v173
	v_fmamk_f32 v199, v30, 0x3ee437d1, v183
	v_fmamk_f32 v200, v0, 0xbeb8f4ab, v174
	v_mul_f32_e32 v173, 0x3eb8f4ab, v172
	v_fmamk_f32 v198, v38, 0x3eb8f4ab, v192
	v_fmamk_f32 v201, v37, 0x3f2c7751, v188
	v_add_f32_e32 v199, v191, v199
	v_mul_f32_e32 v191, 0x3ee437d1, v24
	v_add_f32_e32 v24, v197, v200
	v_fmamk_f32 v197, v39, 0x3f6eb680, v173
	v_add_f32_e32 v200, v10, v167
	v_mul_f32_e32 v167, 0x3dbcf732, v23
	v_add_f32_e32 v198, v10, v198
	v_fmac_f32_e32 v166, 0xbe3c28d5, v38
	v_add_f32_e32 v23, v199, v197
	v_add_f32_e32 v197, v8, v82
	;; [unrolled: 1-line block ×3, first 2 shown]
	v_mul_f32_e32 v82, 0xbe8c1d8e, v171
	v_add_f32_e32 v198, v198, v201
	v_fmamk_f32 v201, v29, 0x3f65296c, v191
	v_add_f32_e32 v171, v197, v77
	v_add_f32_e32 v158, v161, v158
	v_fmamk_f32 v199, v28, 0x3f7ee86f, v167
	v_mul_f32_e32 v77, 0xbeb8f4ab, v170
	v_add_f32_e32 v198, v198, v201
	v_add_f32_e32 v171, v171, v59
	;; [unrolled: 1-line block ×3, first 2 shown]
	v_mul_f32_e32 v59, 0xbf2c7751, v169
	v_fmamk_f32 v170, v27, 0x3f763a35, v82
	v_add_f32_e32 v161, v198, v199
	v_add_f32_e32 v169, v171, v56
	v_add_f32_e32 v144, v144, v142
	v_fmamk_f32 v158, v36, 0x3f6eb680, v77
	v_mul_f32_e32 v56, 0xbf1a4643, v159
	v_add_f32_e32 v161, v161, v170
	v_add_f32_e32 v159, v169, v52
	;; [unrolled: 1-line block ×4, first 2 shown]
	v_fmamk_f32 v170, v35, 0x3f3d2fb0, v59
	v_mul_f32_e32 v142, 0xbf65296c, v168
	v_add_f32_e32 v159, v159, v51
	v_add_f32_e32 v110, v118, v110
	v_mul_f32_e32 v52, 0xbf7ee86f, v165
	v_add_f32_e32 v144, v158, v170
	v_fmamk_f32 v158, v34, 0x3ee437d1, v142
	v_add_f32_e32 v159, v159, v50
	v_add_f32_e32 v110, v110, v103
	v_mul_f32_e32 v51, 0xbf763a35, v164
	v_mul_f32_e32 v50, 0xbf59a7d5, v117
	v_add_f32_e32 v118, v144, v158
	v_fmamk_f32 v144, v33, 0x3dbcf732, v52
	v_add_f32_e32 v117, v159, v60
	v_add_f32_e32 v89, v89, v110
	v_mul_f32_e32 v103, 0xbf4c4adb, v163
	v_fmamk_f32 v165, v9, 0x3f4c4adb, v56
	v_add_f32_e32 v118, v118, v144
	v_fmamk_f32 v144, v32, 0xbe8c1d8e, v51
	v_add_f32_e32 v53, v53, v117
	v_add_f32_e32 v83, v83, v89
	v_mul_f32_e32 v60, 0xbf06c442, v162
	v_add_f32_e32 v158, v161, v165
	v_add_f32_e32 v110, v118, v144
	v_fmamk_f32 v118, v31, 0xbf1a4643, v103
	v_add_f32_e32 v53, v49, v53
	v_add_f32_e32 v69, v69, v83
	v_fmamk_f32 v117, v7, 0x3f06c442, v50
	v_mul_f32_e32 v49, 0xbf7ba420, v92
	v_add_f32_e32 v89, v110, v118
	v_fmamk_f32 v110, v30, 0xbf59a7d5, v60
	v_add_f32_e32 v53, v47, v53
	v_add_f32_e32 v26, v26, v69
	v_add_f32_e32 v117, v158, v117
	v_mul_f32_e32 v47, 0xbe3c28d5, v172
	v_add_f32_e32 v83, v89, v110
	v_fmamk_f32 v69, v0, 0x3e3c28d5, v49
	v_add_f32_e32 v45, v45, v53
	v_add_f32_e32 v89, v25, v26
	v_fmamk_f32 v53, v39, 0xbf7ba420, v47
	v_fmac_f32_e32 v156, 0x3eb8f4ab, v37
	v_add_f32_e32 v26, v117, v69
	v_add_f32_e32 v69, v10, v166
	;; [unrolled: 1-line block ×4, first 2 shown]
	v_fma_f32 v48, 0xbf7ba420, v36, -v160
	v_add_f32_e32 v25, v83, v53
	v_add_f32_e32 v53, v69, v156
	v_fmac_f32_e32 v154, 0xbf06c442, v29
	v_add_f32_e32 v42, v42, v43
	v_add_f32_e32 v43, v46, v45
	;; [unrolled: 1-line block ×3, first 2 shown]
	v_fma_f32 v46, 0x3f6eb680, v35, -v157
	v_add_f32_e32 v48, v53, v154
	v_fmac_f32_e32 v152, 0x3f2c7751, v28
	v_add_f32_e32 v42, v41, v42
	v_add_f32_e32 v41, v44, v43
	;; [unrolled: 1-line block ×3, first 2 shown]
	v_fma_f32 v44, 0xbf59a7d5, v34, -v155
	v_add_f32_e32 v45, v48, v152
	v_fmac_f32_e32 v102, 0xbf4c4adb, v27
	v_add_f32_e32 v40, v40, v42
	v_fmac_f32_e32 v96, 0x3f65296c, v9
	v_add_f32_e32 v42, v43, v44
	v_fma_f32 v43, 0x3f3d2fb0, v33, -v114
	v_add_f32_e32 v44, v45, v102
	v_fma_f32 v46, 0xbf59a7d5, v36, -v115
	v_fmac_f32_e32 v87, 0xbf763a35, v7
	v_fma_f32 v48, 0x3ee437d1, v35, -v107
	v_add_f32_e32 v42, v42, v43
	v_fma_f32 v43, 0xbf1a4643, v32, -v106
	v_add_f32_e32 v44, v44, v96
	v_add_f32_e32 v46, v8, v46
	v_fmac_f32_e32 v55, 0x3f7ee86f, v0
	v_fmac_f32_e32 v129, 0xbf06c442, v38
	v_add_f32_e32 v42, v42, v43
	v_fma_f32 v43, 0x3ee437d1, v31, -v98
	v_add_f32_e32 v44, v44, v87
	v_add_f32_e32 v46, v46, v48
	v_fma_f32 v48, 0x3dbcf732, v34, -v108
	v_add_f32_e32 v45, v10, v129
	v_add_f32_e32 v42, v42, v43
	v_fma_f32 v43, 0xbe8c1d8e, v30, -v78
	v_fmac_f32_e32 v116, 0x3f65296c, v37
	v_fmac_f32_e32 v130, 0xbf7ee86f, v29
	v_fma_f32 v53, 0x3dbcf732, v39, -v65
	v_fmac_f32_e32 v88, 0xbf4c4adb, v38
	v_add_f32_e32 v42, v42, v43
	v_add_f32_e32 v43, v44, v55
	;; [unrolled: 1-line block ×3, first 2 shown]
	v_fma_f32 v46, 0xbf1a4643, v33, -v109
	v_fma_f32 v48, 0xbf1a4643, v36, -v134
	v_add_f32_e32 v45, v45, v116
	v_fma_f32 v55, 0xbe8c1d8e, v35, -v119
	v_fmac_f32_e32 v131, 0x3f4c4adb, v28
	v_add_f32_e32 v44, v44, v46
	v_fma_f32 v46, 0x3f6eb680, v32, -v94
	v_add_f32_e32 v48, v8, v48
	v_add_f32_e32 v45, v45, v130
	;; [unrolled: 1-line block ×5, first 2 shown]
	v_fma_f32 v46, 0xbf7ba420, v31, -v71
	v_fmac_f32_e32 v85, 0x3f763a35, v37
	v_add_f32_e32 v48, v48, v55
	v_fma_f32 v55, 0x3f6eb680, v34, -v120
	v_add_f32_e32 v45, v45, v131
	v_add_f32_e32 v44, v44, v46
	v_fma_f32 v46, 0x3f3d2fb0, v30, -v72
	v_fmac_f32_e32 v132, 0xbeb8f4ab, v27
	v_add_f32_e32 v53, v53, v85
	v_fmac_f32_e32 v111, 0xbeb8f4ab, v29
	v_fmac_f32_e32 v133, 0xbe3c28d5, v9
	v_add_f32_e32 v44, v44, v46
	v_add_f32_e32 v46, v48, v55
	v_fma_f32 v48, 0xbf59a7d5, v33, -v121
	v_add_f32_e32 v45, v45, v132
	v_add_f32_e32 v53, v53, v111
	v_fmac_f32_e32 v112, 0xbf06c442, v28
	v_fmac_f32_e32 v105, 0x3f2c7751, v7
	v_add_f32_e32 v46, v46, v48
	v_fma_f32 v48, 0x3dbcf732, v32, -v122
	v_add_f32_e32 v45, v45, v133
	v_add_f32_e32 v53, v53, v112
	v_fmac_f32_e32 v113, 0x3f7ee86f, v27
	v_fmac_f32_e32 v61, 0xbf763a35, v0
	v_add_f32_e32 v46, v46, v48
	v_fma_f32 v48, 0x3f3d2fb0, v31, -v104
	v_add_f32_e32 v45, v45, v105
	v_fma_f32 v55, 0xbe8c1d8e, v39, -v66
	v_add_f32_e32 v53, v53, v113
	v_fmac_f32_e32 v100, 0xbf2c7751, v9
	v_fmac_f32_e32 v136, 0xbf763a35, v38
	v_add_f32_e32 v46, v46, v48
	v_fma_f32 v48, 0xbe8c1d8e, v36, -v135
	v_add_f32_e32 v45, v45, v61
	v_add_f32_e32 v44, v44, v55
	;; [unrolled: 1-line block ×4, first 2 shown]
	v_fmac_f32_e32 v91, 0x3f06c442, v37
	v_fmac_f32_e32 v76, 0xbe3c28d5, v7
	v_fma_f32 v61, 0xbf7ba420, v30, -v84
	v_add_f32_e32 v48, v8, v48
	v_fma_f32 v65, 0xbf59a7d5, v35, -v123
	v_add_f32_e32 v55, v55, v91
	v_fmac_f32_e32 v126, 0x3f2c7751, v29
	v_add_f32_e32 v53, v53, v76
	v_add_f32_e32 v46, v46, v61
	v_fmac_f32_e32 v68, 0x3f65296c, v0
	v_add_f32_e32 v48, v48, v65
	v_fma_f32 v61, 0x3f3d2fb0, v34, -v124
	v_add_f32_e32 v55, v55, v126
	v_fmac_f32_e32 v127, 0xbf65296c, v28
	v_add_f32_e32 v66, v53, v68
	v_fma_f32 v53, 0x3ee437d1, v33, -v125
	v_add_f32_e32 v48, v48, v61
	v_fma_f32 v65, 0x3ee437d1, v39, -v75
	v_add_f32_e32 v55, v55, v127
	v_fmac_f32_e32 v128, 0xbe3c28d5, v27
	v_fmac_f32_e32 v99, 0xbf7ee86f, v38
	v_add_f32_e32 v48, v48, v53
	v_fma_f32 v53, 0x3dbcf732, v36, -v153
	v_add_f32_e32 v65, v46, v65
	v_add_f32_e32 v46, v55, v128
	v_fma_f32 v55, 0xbf7ba420, v32, -v80
	v_add_f32_e32 v61, v10, v99
	v_fmac_f32_e32 v95, 0xbe3c28d5, v37
	v_add_f32_e32 v53, v8, v53
	v_fma_f32 v68, 0xbf7ba420, v35, -v145
	v_add_f32_e32 v48, v48, v55
	v_fmac_f32_e32 v137, 0x3f763a35, v29
	v_add_f32_e32 v55, v61, v95
	v_fma_f32 v61, 0x3dbcf732, v31, -v74
	v_add_f32_e32 v53, v53, v68
	v_fma_f32 v68, 0xbe8c1d8e, v34, -v146
	v_fmac_f32_e32 v81, 0x3f7ee86f, v9
	v_add_f32_e32 v55, v55, v137
	v_fmac_f32_e32 v138, 0x3eb8f4ab, v28
	v_add_f32_e32 v48, v48, v61
	v_add_f32_e32 v53, v53, v68
	v_fma_f32 v61, 0x3f6eb680, v33, -v147
	v_add_f32_e32 v46, v46, v81
	v_fmac_f32_e32 v64, 0xbeb8f4ab, v7
	v_add_f32_e32 v55, v55, v138
	v_fmac_f32_e32 v139, 0xbf65296c, v27
	v_add_f32_e32 v53, v53, v61
	v_fma_f32 v61, 0x3ee437d1, v32, -v148
	v_fma_f32 v68, 0x3f6eb680, v30, -v70
	v_add_f32_e32 v46, v46, v64
	v_add_f32_e32 v55, v55, v139
	v_fmac_f32_e32 v140, 0xbf06c442, v9
	v_fmac_f32_e32 v57, 0xbf4c4adb, v0
	v_add_f32_e32 v53, v53, v61
	v_fma_f32 v61, 0xbf59a7d5, v31, -v149
	v_add_f32_e32 v48, v48, v68
	v_fma_f32 v63, 0xbf1a4643, v39, -v63
	v_add_f32_e32 v55, v55, v140
	v_fmac_f32_e32 v141, 0x3f4c4adb, v7
	v_add_f32_e32 v64, v46, v57
	v_add_f32_e32 v46, v53, v61
	v_fma_f32 v53, 0xbf1a4643, v30, -v150
	v_add_f32_e32 v63, v48, v63
	v_add_f32_e32 v48, v55, v141
	v_fmac_f32_e32 v86, 0x3f2c7751, v0
	v_fmac_f32_e32 v93, 0xbf65296c, v38
	v_add_f32_e32 v46, v46, v53
	v_fma_f32 v53, 0x3ee437d1, v36, -v151
	v_fma_f32 v55, 0x3f3d2fb0, v39, -v90
	v_add_f32_e32 v69, v48, v86
	v_add_f32_e32 v48, v10, v93
	v_fmac_f32_e32 v79, 0xbf4c4adb, v37
	v_add_f32_e32 v53, v8, v53
	v_fma_f32 v57, 0xbf1a4643, v35, -v143
	v_add_f32_e32 v68, v46, v55
	v_fmac_f32_e32 v73, 0x3e3c28d5, v29
	v_add_f32_e32 v46, v48, v79
	v_fmac_f32_e32 v67, 0x3f763a35, v28
	v_add_f32_e32 v48, v53, v57
	v_fma_f32 v53, 0xbf7ba420, v34, -v101
	v_fmac_f32_e32 v62, 0x3f2c7751, v27
	v_add_f32_e32 v46, v46, v73
	v_fmac_f32_e32 v58, 0xbeb8f4ab, v9
	v_fmac_f32_e32 v189, 0xbf2c7751, v38
	v_add_f32_e32 v48, v48, v53
	v_fma_f32 v53, 0xbe8c1d8e, v33, -v97
	v_add_f32_e32 v46, v46, v67
	v_fmac_f32_e32 v54, 0xbf7ee86f, v7
	v_fmac_f32_e32 v192, 0xbeb8f4ab, v38
	v_add_f32_e32 v55, v10, v189
	v_add_f32_e32 v48, v48, v53
	v_fma_f32 v53, 0x3f3d2fb0, v32, -v175
	v_add_f32_e32 v46, v46, v62
	v_fmac_f32_e32 v176, 0xbf06c442, v0
	v_fma_f32 v57, 0x3f3d2fb0, v36, -v186
	v_add_f32_e32 v10, v10, v192
	v_add_f32_e32 v48, v48, v53
	v_fma_f32 v53, 0x3f6eb680, v31, -v181
	v_add_f32_e32 v46, v46, v58
	v_fmac_f32_e32 v188, 0xbf2c7751, v37
	v_fma_f32 v36, 0x3f6eb680, v36, -v77
	v_fmac_f32_e32 v193, 0xbf4c4adb, v29
	v_add_f32_e32 v48, v48, v53
	v_fma_f32 v53, 0x3dbcf732, v30, -v182
	v_add_f32_e32 v46, v46, v54
	v_add_f32_e32 v10, v10, v188
	v_fmac_f32_e32 v191, 0xbf65296c, v29
	v_fma_f32 v29, 0x3f3d2fb0, v35, -v59
	v_add_f32_e32 v48, v48, v53
	v_fma_f32 v53, 0xbf59a7d5, v39, -v185
	v_add_f32_e32 v54, v46, v176
	v_add_f32_e32 v46, v8, v57
	;; [unrolled: 1-line block ×3, first 2 shown]
	v_fmac_f32_e32 v190, 0xbf7ee86f, v37
	v_add_f32_e32 v53, v48, v53
	v_fma_f32 v48, 0x3dbcf732, v35, -v184
	v_fmac_f32_e32 v194, 0xbe3c28d5, v28
	v_add_f32_e32 v10, v10, v191
	v_fmac_f32_e32 v167, 0xbf7ee86f, v28
	v_add_f32_e32 v8, v8, v29
	v_add_f32_e32 v37, v46, v48
	v_fma_f32 v46, 0xbf1a4643, v34, -v177
	v_fma_f32 v28, 0x3ee437d1, v34, -v142
	v_fmac_f32_e32 v195, 0x3f06c442, v27
	v_fma_f32 v36, 0xbf7ba420, v33, -v178
	v_add_f32_e32 v10, v10, v167
	v_add_f32_e32 v35, v37, v46
	v_fmac_f32_e32 v82, 0xbf763a35, v27
	v_add_f32_e32 v8, v8, v28
	v_fma_f32 v27, 0x3dbcf732, v33, -v52
	v_fmac_f32_e32 v196, 0x3f763a35, v9
	v_add_f32_e32 v29, v35, v36
	v_fma_f32 v34, 0xbf59a7d5, v32, -v179
	v_add_f32_e32 v10, v10, v82
	v_fmac_f32_e32 v56, 0xbf4c4adb, v9
	v_add_f32_e32 v8, v8, v27
	v_fma_f32 v9, 0xbe8c1d8e, v32, -v51
	v_fmac_f32_e32 v187, 0x3f65296c, v7
	v_add_f32_e32 v28, v29, v34
	v_fma_f32 v29, 0xbe8c1d8e, v31, -v180
	v_add_f32_e32 v10, v10, v56
	v_fmac_f32_e32 v50, 0xbf06c442, v7
	v_add_f32_e32 v7, v8, v9
	v_fma_f32 v8, 0xbf1a4643, v31, -v103
	v_fmac_f32_e32 v174, 0x3eb8f4ab, v0
	v_add_f32_e32 v27, v28, v29
	v_add_f32_e32 v10, v10, v50
	v_fmac_f32_e32 v49, 0xbe3c28d5, v0
	v_add_f32_e32 v0, v7, v8
	v_fma_f32 v29, 0xbf59a7d5, v30, -v60
	v_lshlrev_b64 v[8:9], 3, v[5:6]
	v_add_f32_e32 v55, v55, v190
	v_add_f32_e32 v5, v10, v49
	v_fma_f32 v28, 0x3ee437d1, v30, -v183
	v_add_f32_e32 v10, v0, v29
	v_lshlrev_b64 v[0:1], 3, v[1:2]
	v_add_co_u32 v8, vcc_lo, s10, v8
	v_add_co_ci_u32_e32 v9, vcc_lo, s11, v9, vcc_lo
	v_add_f32_e32 v55, v55, v193
	v_lshlrev_b64 v[2:3], 3, v[3:4]
	v_add_co_u32 v0, vcc_lo, v8, v0
	v_add_co_ci_u32_e32 v1, vcc_lo, v9, v1, vcc_lo
	v_add_f32_e32 v55, v55, v194
	v_add_co_u32 v0, vcc_lo, v0, v2
	v_add_co_ci_u32_e32 v1, vcc_lo, v1, v3, vcc_lo
	v_add_f32_e32 v55, v55, v195
	;; [unrolled: 3-line block ×3, first 2 shown]
	v_add_co_u32 v8, vcc_lo, 0x1000, v0
	v_add_co_ci_u32_e32 v9, vcc_lo, 0, v1, vcc_lo
	global_store_dwordx2 v[0:1], v[40:41], off
	global_store_dwordx2 v[0:1], v[25:26], off offset:680
	global_store_dwordx2 v[0:1], v[23:24], off offset:1360
	;; [unrolled: 1-line block ×5, first 2 shown]
	v_add_co_u32 v17, vcc_lo, 0x1800, v0
	v_add_f32_e32 v38, v55, v187
	v_add_f32_e32 v27, v27, v28
	v_fma_f32 v28, 0x3f6eb680, v39, -v173
	v_add_co_ci_u32_e32 v18, vcc_lo, 0, v1, vcc_lo
	v_fma_f32 v4, 0xbf7ba420, v39, -v47
	global_store_dwordx2 v[2:3], v[15:16], off offset:2032
	global_store_dwordx2 v[8:9], v[13:14], off offset:664
	;; [unrolled: 1-line block ×6, first 2 shown]
	v_add_co_u32 v2, vcc_lo, 0x2000, v0
	v_add_co_ci_u32_e32 v3, vcc_lo, 0, v1, vcc_lo
	v_add_co_u32 v0, vcc_lo, 0x2800, v0
	v_add_f32_e32 v7, v38, v174
	v_add_f32_e32 v6, v27, v28
	;; [unrolled: 1-line block ×3, first 2 shown]
	v_add_co_ci_u32_e32 v1, vcc_lo, 0, v1, vcc_lo
	global_store_dwordx2 v[17:18], v[63:64], off offset:2016
	global_store_dwordx2 v[2:3], v[68:69], off offset:648
	;; [unrolled: 1-line block ×5, first 2 shown]
.LBB0_23:
	s_endpgm
	.section	.rodata,"a",@progbits
	.p2align	6, 0x0
	.amdhsa_kernel fft_rtc_back_len1445_factors_17_5_17_wgs_85_tpt_85_halfLds_sp_op_CI_CI_unitstride_sbrr_dirReg
		.amdhsa_group_segment_fixed_size 0
		.amdhsa_private_segment_fixed_size 0
		.amdhsa_kernarg_size 104
		.amdhsa_user_sgpr_count 6
		.amdhsa_user_sgpr_private_segment_buffer 1
		.amdhsa_user_sgpr_dispatch_ptr 0
		.amdhsa_user_sgpr_queue_ptr 0
		.amdhsa_user_sgpr_kernarg_segment_ptr 1
		.amdhsa_user_sgpr_dispatch_id 0
		.amdhsa_user_sgpr_flat_scratch_init 0
		.amdhsa_user_sgpr_private_segment_size 0
		.amdhsa_wavefront_size32 1
		.amdhsa_uses_dynamic_stack 0
		.amdhsa_system_sgpr_private_segment_wavefront_offset 0
		.amdhsa_system_sgpr_workgroup_id_x 1
		.amdhsa_system_sgpr_workgroup_id_y 0
		.amdhsa_system_sgpr_workgroup_id_z 0
		.amdhsa_system_sgpr_workgroup_info 0
		.amdhsa_system_vgpr_workitem_id 0
		.amdhsa_next_free_vgpr 251
		.amdhsa_next_free_sgpr 27
		.amdhsa_reserve_vcc 1
		.amdhsa_reserve_flat_scratch 0
		.amdhsa_float_round_mode_32 0
		.amdhsa_float_round_mode_16_64 0
		.amdhsa_float_denorm_mode_32 3
		.amdhsa_float_denorm_mode_16_64 3
		.amdhsa_dx10_clamp 1
		.amdhsa_ieee_mode 1
		.amdhsa_fp16_overflow 0
		.amdhsa_workgroup_processor_mode 1
		.amdhsa_memory_ordered 1
		.amdhsa_forward_progress 0
		.amdhsa_shared_vgpr_count 0
		.amdhsa_exception_fp_ieee_invalid_op 0
		.amdhsa_exception_fp_denorm_src 0
		.amdhsa_exception_fp_ieee_div_zero 0
		.amdhsa_exception_fp_ieee_overflow 0
		.amdhsa_exception_fp_ieee_underflow 0
		.amdhsa_exception_fp_ieee_inexact 0
		.amdhsa_exception_int_div_zero 0
	.end_amdhsa_kernel
	.text
.Lfunc_end0:
	.size	fft_rtc_back_len1445_factors_17_5_17_wgs_85_tpt_85_halfLds_sp_op_CI_CI_unitstride_sbrr_dirReg, .Lfunc_end0-fft_rtc_back_len1445_factors_17_5_17_wgs_85_tpt_85_halfLds_sp_op_CI_CI_unitstride_sbrr_dirReg
                                        ; -- End function
	.section	.AMDGPU.csdata,"",@progbits
; Kernel info:
; codeLenInByte = 15016
; NumSgprs: 29
; NumVgprs: 251
; ScratchSize: 0
; MemoryBound: 0
; FloatMode: 240
; IeeeMode: 1
; LDSByteSize: 0 bytes/workgroup (compile time only)
; SGPRBlocks: 3
; VGPRBlocks: 31
; NumSGPRsForWavesPerEU: 29
; NumVGPRsForWavesPerEU: 251
; Occupancy: 4
; WaveLimiterHint : 1
; COMPUTE_PGM_RSRC2:SCRATCH_EN: 0
; COMPUTE_PGM_RSRC2:USER_SGPR: 6
; COMPUTE_PGM_RSRC2:TRAP_HANDLER: 0
; COMPUTE_PGM_RSRC2:TGID_X_EN: 1
; COMPUTE_PGM_RSRC2:TGID_Y_EN: 0
; COMPUTE_PGM_RSRC2:TGID_Z_EN: 0
; COMPUTE_PGM_RSRC2:TIDIG_COMP_CNT: 0
	.text
	.p2alignl 6, 3214868480
	.fill 48, 4, 3214868480
	.type	__hip_cuid_a1207212e39a820,@object ; @__hip_cuid_a1207212e39a820
	.section	.bss,"aw",@nobits
	.globl	__hip_cuid_a1207212e39a820
__hip_cuid_a1207212e39a820:
	.byte	0                               ; 0x0
	.size	__hip_cuid_a1207212e39a820, 1

	.ident	"AMD clang version 19.0.0git (https://github.com/RadeonOpenCompute/llvm-project roc-6.4.0 25133 c7fe45cf4b819c5991fe208aaa96edf142730f1d)"
	.section	".note.GNU-stack","",@progbits
	.addrsig
	.addrsig_sym __hip_cuid_a1207212e39a820
	.amdgpu_metadata
---
amdhsa.kernels:
  - .args:
      - .actual_access:  read_only
        .address_space:  global
        .offset:         0
        .size:           8
        .value_kind:     global_buffer
      - .offset:         8
        .size:           8
        .value_kind:     by_value
      - .actual_access:  read_only
        .address_space:  global
        .offset:         16
        .size:           8
        .value_kind:     global_buffer
      - .actual_access:  read_only
        .address_space:  global
        .offset:         24
        .size:           8
        .value_kind:     global_buffer
      - .actual_access:  read_only
        .address_space:  global
        .offset:         32
        .size:           8
        .value_kind:     global_buffer
      - .offset:         40
        .size:           8
        .value_kind:     by_value
      - .actual_access:  read_only
        .address_space:  global
        .offset:         48
        .size:           8
        .value_kind:     global_buffer
      - .actual_access:  read_only
        .address_space:  global
        .offset:         56
        .size:           8
        .value_kind:     global_buffer
      - .offset:         64
        .size:           4
        .value_kind:     by_value
      - .actual_access:  read_only
        .address_space:  global
        .offset:         72
        .size:           8
        .value_kind:     global_buffer
      - .actual_access:  read_only
        .address_space:  global
        .offset:         80
        .size:           8
        .value_kind:     global_buffer
      - .actual_access:  read_only
        .address_space:  global
        .offset:         88
        .size:           8
        .value_kind:     global_buffer
      - .actual_access:  write_only
        .address_space:  global
        .offset:         96
        .size:           8
        .value_kind:     global_buffer
    .group_segment_fixed_size: 0
    .kernarg_segment_align: 8
    .kernarg_segment_size: 104
    .language:       OpenCL C
    .language_version:
      - 2
      - 0
    .max_flat_workgroup_size: 85
    .name:           fft_rtc_back_len1445_factors_17_5_17_wgs_85_tpt_85_halfLds_sp_op_CI_CI_unitstride_sbrr_dirReg
    .private_segment_fixed_size: 0
    .sgpr_count:     29
    .sgpr_spill_count: 0
    .symbol:         fft_rtc_back_len1445_factors_17_5_17_wgs_85_tpt_85_halfLds_sp_op_CI_CI_unitstride_sbrr_dirReg.kd
    .uniform_work_group_size: 1
    .uses_dynamic_stack: false
    .vgpr_count:     251
    .vgpr_spill_count: 0
    .wavefront_size: 32
    .workgroup_processor_mode: 1
amdhsa.target:   amdgcn-amd-amdhsa--gfx1030
amdhsa.version:
  - 1
  - 2
...

	.end_amdgpu_metadata
